;; amdgpu-corpus repo=ROCm/rocm-libraries kind=compiled arch=gfx90a opt=O3
	.text
	.amdgcn_target "amdgcn-amd-amdhsa--gfx90a"
	.amdhsa_code_object_version 6
	.protected	UniversalTranspose      ; -- Begin function UniversalTranspose
	.globl	UniversalTranspose
	.p2align	8
	.type	UniversalTranspose,@function
UniversalTranspose:                     ; @UniversalTranspose
; %bb.0:
	s_load_dword s0, s[4:5], 0x88
	s_load_dword s1, s[4:5], 0x94
	s_load_dwordx4 s[44:47], s[4:5], 0x0
	s_load_dwordx16 s[8:23], s[4:5], 0x10
	s_load_dwordx8 s[24:31], s[4:5], 0x70
	s_load_dwordx8 s[36:43], s[4:5], 0x50
	v_mov_b32_e32 v2, 0
	s_waitcnt lgkmcnt(0)
	s_and_b32 s1, s1, 0xffff
	v_mov_b32_e32 v1, v2
	v_mov_b32_e32 v3, s6
	s_mul_hi_u32 s30, s1, s0
	s_mul_i32 s31, s1, s0
	v_mad_u64_u32 v[0:1], s[0:1], s1, v3, v[0:1]
	s_mul_i32 s0, s16, s15
	s_mul_hi_u32 s1, s16, s14
	s_add_i32 s15, s1, s0
	s_mul_i32 s0, s17, s14
	s_mul_i32 s14, s16, s14
	s_add_i32 s15, s15, s0
	s_mul_i32 s0, s14, s13
	s_mul_hi_u32 s1, s14, s12
	s_add_i32 s13, s1, s0
	s_mul_i32 s0, s15, s12
	s_mul_i32 s12, s14, s12
	s_add_i32 s13, s13, s0
	s_mul_i32 s1, s12, s11
	s_mul_hi_u32 s2, s12, s10
	s_mul_i32 s0, s13, s10
	s_add_i32 s11, s2, s1
	s_mul_i32 s10, s12, s10
	s_add_i32 s11, s11, s0
	s_mul_i32 s1, s10, s9
	s_mul_hi_u32 s2, s10, s8
	s_mul_i32 s0, s11, s8
	s_add_i32 s1, s2, s1
	s_add_i32 s3, s1, s0
	s_mul_i32 s2, s10, s8
	v_cmp_gt_u64_e32 vcc, s[2:3], v[0:1]
	s_mov_b64 s[4:5], 0
	s_and_saveexec_b64 s[0:1], vcc
	s_cbranch_execnz .LBB0_3
.LBB0_1:
	s_endpgm
.LBB0_2:                                ;   in Loop: Header=BB0_3 Depth=1
	s_or_b64 exec, exec, s[0:1]
	v_mul_lo_u32 v13, v11, s16
	v_mul_lo_u32 v16, v10, s17
	v_mad_u64_u32 v[14:15], s[0:1], v10, s16, 0
	v_add3_u32 v13, v15, v16, v13
	v_sub_co_u32_e32 v3, vcc, v3, v14
	v_subb_co_u32_e32 v22, vcc, v12, v13, vcc
	v_mul_lo_u32 v14, v5, s18
	v_mul_lo_u32 v15, v4, s19
	v_mad_u64_u32 v[12:13], s[0:1], v4, s18, 0
	v_add3_u32 v13, v13, v15, v14
	v_mul_lo_u32 v16, v7, s20
	v_mul_lo_u32 v17, v6, s21
	v_mad_u64_u32 v[14:15], s[0:1], v6, s20, 0
	v_add3_u32 v15, v15, v17, v16
	;; [unrolled: 4-line block ×4, first 2 shown]
	v_mul_lo_u32 v23, v22, s38
	v_mul_lo_u32 v24, v3, s39
	v_mad_u64_u32 v[20:21], s[0:1], v3, s38, 0
	v_lshlrev_b64 v[12:13], 2, v[12:13]
	v_add3_u32 v21, v21, v24, v23
	v_mov_b32_e32 v23, s45
	v_add_co_u32_e32 v24, vcc, s44, v12
	v_addc_co_u32_e32 v23, vcc, v23, v13, vcc
	v_lshlrev_b64 v[12:13], 2, v[14:15]
	v_add_co_u32_e32 v14, vcc, v24, v12
	v_addc_co_u32_e32 v15, vcc, v23, v13, vcc
	v_lshlrev_b64 v[12:13], 2, v[16:17]
	;; [unrolled: 3-line block ×4, first 2 shown]
	v_add_co_u32_e32 v12, vcc, v14, v12
	v_addc_co_u32_e32 v13, vcc, v15, v13, vcc
	global_load_dword v14, v[12:13], off
	v_mul_lo_u32 v12, v5, s40
	v_mul_lo_u32 v13, v4, s41
	v_mad_u64_u32 v[4:5], s[0:1], v4, s40, 0
	v_add3_u32 v5, v5, v13, v12
	v_mul_lo_u32 v12, v7, s42
	v_mul_lo_u32 v13, v6, s43
	v_mad_u64_u32 v[6:7], s[0:1], v6, s42, 0
	v_add3_u32 v7, v7, v13, v12
	;; [unrolled: 4-line block ×4, first 2 shown]
	v_mul_lo_u32 v15, v22, s28
	v_mul_lo_u32 v16, v3, s29
	v_mad_u64_u32 v[12:13], s[0:1], v3, s28, 0
	v_lshlrev_b64 v[4:5], 2, v[4:5]
	v_add3_u32 v13, v13, v16, v15
	v_mov_b32_e32 v3, s47
	v_add_co_u32_e32 v15, vcc, s46, v4
	v_addc_co_u32_e32 v3, vcc, v3, v5, vcc
	v_lshlrev_b64 v[4:5], 2, v[6:7]
	v_add_co_u32_e32 v6, vcc, v15, v4
	v_addc_co_u32_e32 v3, vcc, v3, v5, vcc
	v_lshlrev_b64 v[4:5], 2, v[8:9]
	;; [unrolled: 3-line block ×4, first 2 shown]
	v_add_co_u32_e32 v4, vcc, v6, v4
	v_addc_co_u32_e32 v5, vcc, v3, v5, vcc
	v_mov_b32_e32 v3, s30
	v_add_co_u32_e32 v0, vcc, s31, v0
	v_addc_co_u32_e32 v1, vcc, v1, v3, vcc
	v_cmp_le_u64_e32 vcc, s[2:3], v[0:1]
	s_or_b64 s[4:5], vcc, s[4:5]
	s_waitcnt vmcnt(0)
	global_store_dword v[4:5], v14, off
	s_andn2_b64 exec, exec, s[4:5]
	s_cbranch_execz .LBB0_1
.LBB0_3:                                ; =>This Inner Loop Header: Depth=1
	v_or_b32_e32 v3, s11, v1
	v_cmp_ne_u64_e32 vcc, 0, v[2:3]
                                        ; implicit-def: $vgpr4_vgpr5
	s_and_saveexec_b64 s[0:1], vcc
	s_xor_b64 s[6:7], exec, s[0:1]
	s_cbranch_execz .LBB0_5
; %bb.4:                                ;   in Loop: Header=BB0_3 Depth=1
	v_cvt_f32_u32_e32 v3, s10
	v_cvt_f32_u32_e32 v4, s11
	s_sub_u32 s0, 0, s10
	s_subb_u32 s1, 0, s11
	v_madmk_f32 v3, v4, 0x4f800000, v3
	v_rcp_f32_e32 v3, v3
	v_mul_f32_e32 v3, 0x5f7ffffc, v3
	v_mul_f32_e32 v4, 0x2f800000, v3
	v_trunc_f32_e32 v4, v4
	v_madmk_f32 v3, v4, 0xcf800000, v3
	v_cvt_u32_f32_e32 v4, v4
	v_cvt_u32_f32_e32 v3, v3
	v_mul_lo_u32 v5, s0, v4
	v_mul_hi_u32 v7, s0, v3
	v_mul_lo_u32 v6, s1, v3
	v_add_u32_e32 v5, v7, v5
	v_mul_lo_u32 v8, s0, v3
	v_add_u32_e32 v5, v5, v6
	v_mul_hi_u32 v7, v3, v8
	v_mul_lo_u32 v9, v3, v5
	v_mul_hi_u32 v6, v3, v5
	v_add_co_u32_e32 v7, vcc, v7, v9
	v_addc_co_u32_e32 v6, vcc, 0, v6, vcc
	v_mul_hi_u32 v10, v4, v8
	v_mul_lo_u32 v8, v4, v8
	v_add_co_u32_e32 v7, vcc, v7, v8
	v_mul_hi_u32 v9, v4, v5
	v_addc_co_u32_e32 v6, vcc, v6, v10, vcc
	v_addc_co_u32_e32 v7, vcc, 0, v9, vcc
	v_mul_lo_u32 v5, v4, v5
	v_add_co_u32_e32 v5, vcc, v6, v5
	v_addc_co_u32_e32 v6, vcc, 0, v7, vcc
	v_add_co_u32_e32 v3, vcc, v3, v5
	v_addc_co_u32_e32 v4, vcc, v4, v6, vcc
	v_mul_lo_u32 v5, s0, v4
	v_mul_hi_u32 v6, s0, v3
	v_add_u32_e32 v5, v6, v5
	v_mul_lo_u32 v6, s1, v3
	v_add_u32_e32 v5, v5, v6
	v_mul_lo_u32 v7, s0, v3
	v_mul_hi_u32 v8, v4, v7
	v_mul_lo_u32 v9, v4, v7
	v_mul_lo_u32 v11, v3, v5
	v_mul_hi_u32 v7, v3, v7
	v_mul_hi_u32 v10, v3, v5
	v_add_co_u32_e32 v7, vcc, v7, v11
	v_addc_co_u32_e32 v10, vcc, 0, v10, vcc
	v_add_co_u32_e32 v7, vcc, v7, v9
	v_mul_hi_u32 v6, v4, v5
	v_addc_co_u32_e32 v7, vcc, v10, v8, vcc
	v_addc_co_u32_e32 v6, vcc, 0, v6, vcc
	v_mul_lo_u32 v5, v4, v5
	v_add_co_u32_e32 v5, vcc, v7, v5
	v_addc_co_u32_e32 v6, vcc, 0, v6, vcc
	v_add_co_u32_e32 v3, vcc, v3, v5
	v_addc_co_u32_e32 v6, vcc, v4, v6, vcc
	v_mad_u64_u32 v[4:5], s[0:1], v0, v6, 0
	v_mul_hi_u32 v7, v0, v3
	v_add_co_u32_e32 v8, vcc, v7, v4
	v_addc_co_u32_e32 v9, vcc, 0, v5, vcc
	v_mad_u64_u32 v[4:5], s[0:1], v1, v6, 0
	v_mad_u64_u32 v[6:7], s[0:1], v1, v3, 0
	v_add_co_u32_e32 v3, vcc, v8, v6
	v_addc_co_u32_e32 v3, vcc, v9, v7, vcc
	v_addc_co_u32_e32 v5, vcc, 0, v5, vcc
	v_add_co_u32_e32 v3, vcc, v3, v4
	v_addc_co_u32_e32 v6, vcc, 0, v5, vcc
	v_mul_lo_u32 v7, s11, v3
	v_mul_lo_u32 v8, s10, v6
	v_mad_u64_u32 v[4:5], s[0:1], s10, v3, 0
	v_add3_u32 v5, v5, v8, v7
	v_sub_u32_e32 v7, v1, v5
	v_mov_b32_e32 v8, s11
	v_sub_co_u32_e32 v4, vcc, v0, v4
	v_subb_co_u32_e64 v7, s[0:1], v7, v8, vcc
	v_subrev_co_u32_e64 v8, s[0:1], s10, v4
	v_subbrev_co_u32_e64 v7, s[0:1], 0, v7, s[0:1]
	v_cmp_le_u32_e64 s[0:1], s11, v7
	v_cndmask_b32_e64 v9, 0, -1, s[0:1]
	v_cmp_le_u32_e64 s[0:1], s10, v8
	v_cndmask_b32_e64 v8, 0, -1, s[0:1]
	v_cmp_eq_u32_e64 s[0:1], s11, v7
	v_cndmask_b32_e64 v7, v9, v8, s[0:1]
	v_add_co_u32_e64 v8, s[0:1], 2, v3
	v_addc_co_u32_e64 v9, s[0:1], 0, v6, s[0:1]
	v_add_co_u32_e64 v10, s[0:1], 1, v3
	v_addc_co_u32_e64 v11, s[0:1], 0, v6, s[0:1]
	v_subb_co_u32_e32 v5, vcc, v1, v5, vcc
	v_cmp_ne_u32_e64 s[0:1], 0, v7
	v_cmp_le_u32_e32 vcc, s11, v5
	v_cndmask_b32_e64 v7, v11, v9, s[0:1]
	v_cndmask_b32_e64 v9, 0, -1, vcc
	v_cmp_le_u32_e32 vcc, s10, v4
	v_cndmask_b32_e64 v4, 0, -1, vcc
	v_cmp_eq_u32_e32 vcc, s11, v5
	v_cndmask_b32_e32 v4, v9, v4, vcc
	v_cmp_ne_u32_e32 vcc, 0, v4
	v_cndmask_b32_e64 v4, v10, v8, s[0:1]
	v_cndmask_b32_e32 v5, v6, v7, vcc
	v_cndmask_b32_e32 v4, v3, v4, vcc
.LBB0_5:                                ;   in Loop: Header=BB0_3 Depth=1
	s_andn2_saveexec_b64 s[0:1], s[6:7]
	s_cbranch_execz .LBB0_7
; %bb.6:                                ;   in Loop: Header=BB0_3 Depth=1
	v_cvt_f32_u32_e32 v3, s10
	s_sub_i32 s6, 0, s10
	v_rcp_iflag_f32_e32 v3, v3
	v_mul_f32_e32 v3, 0x4f7ffffe, v3
	v_cvt_u32_f32_e32 v3, v3
	v_mul_lo_u32 v4, s6, v3
	v_mul_hi_u32 v4, v3, v4
	v_add_u32_e32 v3, v3, v4
	v_mul_hi_u32 v3, v0, v3
	v_mul_lo_u32 v4, v3, s10
	v_sub_u32_e32 v4, v0, v4
	v_add_u32_e32 v5, 1, v3
	v_subrev_u32_e32 v6, s10, v4
	v_cmp_le_u32_e32 vcc, s10, v4
	v_cndmask_b32_e32 v4, v4, v6, vcc
	v_cndmask_b32_e32 v3, v3, v5, vcc
	v_add_u32_e32 v5, 1, v3
	v_cmp_le_u32_e32 vcc, s10, v4
	v_cndmask_b32_e32 v4, v3, v5, vcc
	v_mov_b32_e32 v5, 0
.LBB0_7:                                ;   in Loop: Header=BB0_3 Depth=1
	s_or_b64 exec, exec, s[0:1]
	v_mul_lo_u32 v3, v5, s10
	v_mul_lo_u32 v8, v4, s11
	v_mad_u64_u32 v[6:7], s[0:1], v4, s10, 0
	v_add3_u32 v7, v7, v8, v3
	v_sub_co_u32_e32 v3, vcc, v0, v6
	v_subb_co_u32_e32 v8, vcc, v1, v7, vcc
	v_or_b32_e32 v7, s13, v8
	v_mov_b32_e32 v6, 0
	v_cmp_ne_u64_e32 vcc, 0, v[6:7]
                                        ; implicit-def: $vgpr6_vgpr7
	s_and_saveexec_b64 s[0:1], vcc
	s_xor_b64 s[6:7], exec, s[0:1]
	s_cbranch_execz .LBB0_9
; %bb.8:                                ;   in Loop: Header=BB0_3 Depth=1
	v_cvt_f32_u32_e32 v6, s12
	v_cvt_f32_u32_e32 v7, s13
	s_sub_u32 s0, 0, s12
	s_subb_u32 s1, 0, s13
	v_madmk_f32 v6, v7, 0x4f800000, v6
	v_rcp_f32_e32 v6, v6
	v_mul_f32_e32 v6, 0x5f7ffffc, v6
	v_mul_f32_e32 v7, 0x2f800000, v6
	v_trunc_f32_e32 v7, v7
	v_madmk_f32 v6, v7, 0xcf800000, v6
	v_cvt_u32_f32_e32 v7, v7
	v_cvt_u32_f32_e32 v6, v6
	v_mul_lo_u32 v9, s0, v7
	v_mul_hi_u32 v11, s0, v6
	v_mul_lo_u32 v10, s1, v6
	v_add_u32_e32 v9, v11, v9
	v_mul_lo_u32 v12, s0, v6
	v_add_u32_e32 v9, v9, v10
	v_mul_hi_u32 v11, v6, v12
	v_mul_lo_u32 v13, v6, v9
	v_mul_hi_u32 v10, v6, v9
	v_add_co_u32_e32 v11, vcc, v11, v13
	v_addc_co_u32_e32 v10, vcc, 0, v10, vcc
	v_mul_hi_u32 v14, v7, v12
	v_mul_lo_u32 v12, v7, v12
	v_add_co_u32_e32 v11, vcc, v11, v12
	v_mul_hi_u32 v13, v7, v9
	v_addc_co_u32_e32 v10, vcc, v10, v14, vcc
	v_addc_co_u32_e32 v11, vcc, 0, v13, vcc
	v_mul_lo_u32 v9, v7, v9
	v_add_co_u32_e32 v9, vcc, v10, v9
	v_addc_co_u32_e32 v10, vcc, 0, v11, vcc
	v_add_co_u32_e32 v6, vcc, v6, v9
	v_addc_co_u32_e32 v7, vcc, v7, v10, vcc
	v_mul_lo_u32 v9, s0, v7
	v_mul_hi_u32 v10, s0, v6
	v_add_u32_e32 v9, v10, v9
	v_mul_lo_u32 v10, s1, v6
	v_add_u32_e32 v9, v9, v10
	v_mul_lo_u32 v11, s0, v6
	v_mul_hi_u32 v12, v7, v11
	v_mul_lo_u32 v13, v7, v11
	v_mul_lo_u32 v15, v6, v9
	v_mul_hi_u32 v11, v6, v11
	v_mul_hi_u32 v14, v6, v9
	v_add_co_u32_e32 v11, vcc, v11, v15
	v_addc_co_u32_e32 v14, vcc, 0, v14, vcc
	v_add_co_u32_e32 v11, vcc, v11, v13
	v_mul_hi_u32 v10, v7, v9
	v_addc_co_u32_e32 v11, vcc, v14, v12, vcc
	v_addc_co_u32_e32 v10, vcc, 0, v10, vcc
	v_mul_lo_u32 v9, v7, v9
	v_add_co_u32_e32 v9, vcc, v11, v9
	v_addc_co_u32_e32 v10, vcc, 0, v10, vcc
	v_add_co_u32_e32 v9, vcc, v6, v9
	v_addc_co_u32_e32 v10, vcc, v7, v10, vcc
	v_mad_u64_u32 v[6:7], s[0:1], v3, v10, 0
	v_mul_hi_u32 v11, v3, v9
	v_add_co_u32_e32 v12, vcc, v11, v6
	v_addc_co_u32_e32 v13, vcc, 0, v7, vcc
	v_mad_u64_u32 v[6:7], s[0:1], v8, v10, 0
	v_mad_u64_u32 v[10:11], s[0:1], v8, v9, 0
	v_add_co_u32_e32 v9, vcc, v12, v10
	v_addc_co_u32_e32 v9, vcc, v13, v11, vcc
	v_addc_co_u32_e32 v7, vcc, 0, v7, vcc
	v_add_co_u32_e32 v9, vcc, v9, v6
	v_addc_co_u32_e32 v10, vcc, 0, v7, vcc
	v_mul_lo_u32 v11, s13, v9
	v_mul_lo_u32 v12, s12, v10
	v_mad_u64_u32 v[6:7], s[0:1], s12, v9, 0
	v_add3_u32 v7, v7, v12, v11
	v_sub_u32_e32 v11, v8, v7
	v_mov_b32_e32 v12, s13
	v_sub_co_u32_e32 v6, vcc, v3, v6
	v_subb_co_u32_e64 v11, s[0:1], v11, v12, vcc
	v_subrev_co_u32_e64 v12, s[0:1], s12, v6
	v_subbrev_co_u32_e64 v11, s[0:1], 0, v11, s[0:1]
	v_cmp_le_u32_e64 s[0:1], s13, v11
	v_cndmask_b32_e64 v13, 0, -1, s[0:1]
	v_cmp_le_u32_e64 s[0:1], s12, v12
	v_cndmask_b32_e64 v12, 0, -1, s[0:1]
	v_cmp_eq_u32_e64 s[0:1], s13, v11
	v_cndmask_b32_e64 v11, v13, v12, s[0:1]
	v_add_co_u32_e64 v12, s[0:1], 2, v9
	v_addc_co_u32_e64 v13, s[0:1], 0, v10, s[0:1]
	v_add_co_u32_e64 v14, s[0:1], 1, v9
	v_addc_co_u32_e64 v15, s[0:1], 0, v10, s[0:1]
	v_subb_co_u32_e32 v7, vcc, v8, v7, vcc
	v_cmp_ne_u32_e64 s[0:1], 0, v11
	v_cmp_le_u32_e32 vcc, s13, v7
	v_cndmask_b32_e64 v11, v15, v13, s[0:1]
	v_cndmask_b32_e64 v13, 0, -1, vcc
	v_cmp_le_u32_e32 vcc, s12, v6
	v_cndmask_b32_e64 v6, 0, -1, vcc
	v_cmp_eq_u32_e32 vcc, s13, v7
	v_cndmask_b32_e32 v6, v13, v6, vcc
	v_cmp_ne_u32_e32 vcc, 0, v6
	v_cndmask_b32_e64 v6, v14, v12, s[0:1]
	v_cndmask_b32_e32 v7, v10, v11, vcc
	v_cndmask_b32_e32 v6, v9, v6, vcc
.LBB0_9:                                ;   in Loop: Header=BB0_3 Depth=1
	s_andn2_saveexec_b64 s[0:1], s[6:7]
	s_cbranch_execz .LBB0_11
; %bb.10:                               ;   in Loop: Header=BB0_3 Depth=1
	v_cvt_f32_u32_e32 v6, s12
	s_sub_i32 s6, 0, s12
	v_rcp_iflag_f32_e32 v6, v6
	v_mul_f32_e32 v6, 0x4f7ffffe, v6
	v_cvt_u32_f32_e32 v6, v6
	v_mul_lo_u32 v7, s6, v6
	v_mul_hi_u32 v7, v6, v7
	v_add_u32_e32 v6, v6, v7
	v_mul_hi_u32 v6, v3, v6
	v_mul_lo_u32 v7, v6, s12
	v_sub_u32_e32 v7, v3, v7
	v_add_u32_e32 v9, 1, v6
	v_subrev_u32_e32 v10, s12, v7
	v_cmp_le_u32_e32 vcc, s12, v7
	v_cndmask_b32_e32 v7, v7, v10, vcc
	v_cndmask_b32_e32 v6, v6, v9, vcc
	v_add_u32_e32 v9, 1, v6
	v_cmp_le_u32_e32 vcc, s12, v7
	v_cndmask_b32_e32 v6, v6, v9, vcc
	v_mov_b32_e32 v7, 0
.LBB0_11:                               ;   in Loop: Header=BB0_3 Depth=1
	s_or_b64 exec, exec, s[0:1]
	v_mul_lo_u32 v9, v7, s12
	v_mul_lo_u32 v12, v6, s13
	v_mad_u64_u32 v[10:11], s[0:1], v6, s12, 0
	v_add3_u32 v9, v11, v12, v9
	v_sub_co_u32_e32 v3, vcc, v3, v10
	v_subb_co_u32_e32 v10, vcc, v8, v9, vcc
	v_or_b32_e32 v9, s15, v10
	v_mov_b32_e32 v8, 0
	v_cmp_ne_u64_e32 vcc, 0, v[8:9]
                                        ; implicit-def: $vgpr8_vgpr9
	s_and_saveexec_b64 s[0:1], vcc
	s_xor_b64 s[6:7], exec, s[0:1]
	s_cbranch_execz .LBB0_13
; %bb.12:                               ;   in Loop: Header=BB0_3 Depth=1
	v_cvt_f32_u32_e32 v8, s14
	v_cvt_f32_u32_e32 v9, s15
	s_sub_u32 s0, 0, s14
	s_subb_u32 s1, 0, s15
	v_madmk_f32 v8, v9, 0x4f800000, v8
	v_rcp_f32_e32 v8, v8
	v_mul_f32_e32 v8, 0x5f7ffffc, v8
	v_mul_f32_e32 v9, 0x2f800000, v8
	v_trunc_f32_e32 v9, v9
	v_madmk_f32 v8, v9, 0xcf800000, v8
	v_cvt_u32_f32_e32 v9, v9
	v_cvt_u32_f32_e32 v8, v8
	v_mul_lo_u32 v11, s0, v9
	v_mul_hi_u32 v13, s0, v8
	v_mul_lo_u32 v12, s1, v8
	v_add_u32_e32 v11, v13, v11
	v_mul_lo_u32 v14, s0, v8
	v_add_u32_e32 v11, v11, v12
	v_mul_hi_u32 v13, v8, v14
	v_mul_lo_u32 v15, v8, v11
	v_mul_hi_u32 v12, v8, v11
	v_add_co_u32_e32 v13, vcc, v13, v15
	v_addc_co_u32_e32 v12, vcc, 0, v12, vcc
	v_mul_hi_u32 v16, v9, v14
	v_mul_lo_u32 v14, v9, v14
	v_add_co_u32_e32 v13, vcc, v13, v14
	v_mul_hi_u32 v15, v9, v11
	v_addc_co_u32_e32 v12, vcc, v12, v16, vcc
	v_addc_co_u32_e32 v13, vcc, 0, v15, vcc
	v_mul_lo_u32 v11, v9, v11
	v_add_co_u32_e32 v11, vcc, v12, v11
	v_addc_co_u32_e32 v12, vcc, 0, v13, vcc
	v_add_co_u32_e32 v8, vcc, v8, v11
	v_addc_co_u32_e32 v9, vcc, v9, v12, vcc
	v_mul_lo_u32 v11, s0, v9
	v_mul_hi_u32 v12, s0, v8
	v_add_u32_e32 v11, v12, v11
	v_mul_lo_u32 v12, s1, v8
	v_add_u32_e32 v11, v11, v12
	v_mul_lo_u32 v13, s0, v8
	v_mul_hi_u32 v14, v9, v13
	v_mul_lo_u32 v15, v9, v13
	v_mul_lo_u32 v17, v8, v11
	v_mul_hi_u32 v13, v8, v13
	v_mul_hi_u32 v16, v8, v11
	v_add_co_u32_e32 v13, vcc, v13, v17
	v_addc_co_u32_e32 v16, vcc, 0, v16, vcc
	v_add_co_u32_e32 v13, vcc, v13, v15
	v_mul_hi_u32 v12, v9, v11
	v_addc_co_u32_e32 v13, vcc, v16, v14, vcc
	v_addc_co_u32_e32 v12, vcc, 0, v12, vcc
	v_mul_lo_u32 v11, v9, v11
	v_add_co_u32_e32 v11, vcc, v13, v11
	v_addc_co_u32_e32 v12, vcc, 0, v12, vcc
	v_add_co_u32_e32 v11, vcc, v8, v11
	v_addc_co_u32_e32 v12, vcc, v9, v12, vcc
	v_mad_u64_u32 v[8:9], s[0:1], v3, v12, 0
	v_mul_hi_u32 v13, v3, v11
	v_add_co_u32_e32 v14, vcc, v13, v8
	v_addc_co_u32_e32 v15, vcc, 0, v9, vcc
	v_mad_u64_u32 v[8:9], s[0:1], v10, v12, 0
	v_mad_u64_u32 v[12:13], s[0:1], v10, v11, 0
	v_add_co_u32_e32 v11, vcc, v14, v12
	v_addc_co_u32_e32 v11, vcc, v15, v13, vcc
	v_addc_co_u32_e32 v9, vcc, 0, v9, vcc
	v_add_co_u32_e32 v11, vcc, v11, v8
	v_addc_co_u32_e32 v12, vcc, 0, v9, vcc
	v_mul_lo_u32 v13, s15, v11
	v_mul_lo_u32 v14, s14, v12
	v_mad_u64_u32 v[8:9], s[0:1], s14, v11, 0
	v_add3_u32 v9, v9, v14, v13
	v_sub_u32_e32 v13, v10, v9
	v_mov_b32_e32 v14, s15
	v_sub_co_u32_e32 v8, vcc, v3, v8
	v_subb_co_u32_e64 v13, s[0:1], v13, v14, vcc
	v_subrev_co_u32_e64 v14, s[0:1], s14, v8
	v_subbrev_co_u32_e64 v13, s[0:1], 0, v13, s[0:1]
	v_cmp_le_u32_e64 s[0:1], s15, v13
	v_cndmask_b32_e64 v15, 0, -1, s[0:1]
	v_cmp_le_u32_e64 s[0:1], s14, v14
	v_cndmask_b32_e64 v14, 0, -1, s[0:1]
	v_cmp_eq_u32_e64 s[0:1], s15, v13
	v_cndmask_b32_e64 v13, v15, v14, s[0:1]
	v_add_co_u32_e64 v14, s[0:1], 2, v11
	v_addc_co_u32_e64 v15, s[0:1], 0, v12, s[0:1]
	v_add_co_u32_e64 v16, s[0:1], 1, v11
	v_addc_co_u32_e64 v17, s[0:1], 0, v12, s[0:1]
	v_subb_co_u32_e32 v9, vcc, v10, v9, vcc
	v_cmp_ne_u32_e64 s[0:1], 0, v13
	v_cmp_le_u32_e32 vcc, s15, v9
	v_cndmask_b32_e64 v13, v17, v15, s[0:1]
	v_cndmask_b32_e64 v15, 0, -1, vcc
	v_cmp_le_u32_e32 vcc, s14, v8
	v_cndmask_b32_e64 v8, 0, -1, vcc
	v_cmp_eq_u32_e32 vcc, s15, v9
	v_cndmask_b32_e32 v8, v15, v8, vcc
	v_cmp_ne_u32_e32 vcc, 0, v8
	v_cndmask_b32_e64 v8, v16, v14, s[0:1]
	v_cndmask_b32_e32 v9, v12, v13, vcc
	v_cndmask_b32_e32 v8, v11, v8, vcc
.LBB0_13:                               ;   in Loop: Header=BB0_3 Depth=1
	s_andn2_saveexec_b64 s[0:1], s[6:7]
	s_cbranch_execz .LBB0_15
; %bb.14:                               ;   in Loop: Header=BB0_3 Depth=1
	v_cvt_f32_u32_e32 v8, s14
	s_sub_i32 s6, 0, s14
	v_rcp_iflag_f32_e32 v8, v8
	v_mul_f32_e32 v8, 0x4f7ffffe, v8
	v_cvt_u32_f32_e32 v8, v8
	v_mul_lo_u32 v9, s6, v8
	v_mul_hi_u32 v9, v8, v9
	v_add_u32_e32 v8, v8, v9
	v_mul_hi_u32 v8, v3, v8
	v_mul_lo_u32 v9, v8, s14
	v_sub_u32_e32 v9, v3, v9
	v_add_u32_e32 v11, 1, v8
	v_subrev_u32_e32 v12, s14, v9
	v_cmp_le_u32_e32 vcc, s14, v9
	v_cndmask_b32_e32 v9, v9, v12, vcc
	v_cndmask_b32_e32 v8, v8, v11, vcc
	v_add_u32_e32 v11, 1, v8
	v_cmp_le_u32_e32 vcc, s14, v9
	v_cndmask_b32_e32 v8, v8, v11, vcc
	v_mov_b32_e32 v9, 0
.LBB0_15:                               ;   in Loop: Header=BB0_3 Depth=1
	s_or_b64 exec, exec, s[0:1]
	v_mul_lo_u32 v11, v9, s14
	v_mul_lo_u32 v14, v8, s15
	v_mad_u64_u32 v[12:13], s[0:1], v8, s14, 0
	v_add3_u32 v11, v13, v14, v11
	v_sub_co_u32_e32 v3, vcc, v3, v12
	v_subb_co_u32_e32 v12, vcc, v10, v11, vcc
	v_or_b32_e32 v11, s17, v12
	v_mov_b32_e32 v10, 0
	v_cmp_ne_u64_e32 vcc, 0, v[10:11]
                                        ; implicit-def: $vgpr10_vgpr11
	s_and_saveexec_b64 s[0:1], vcc
	s_xor_b64 s[6:7], exec, s[0:1]
	s_cbranch_execz .LBB0_17
; %bb.16:                               ;   in Loop: Header=BB0_3 Depth=1
	v_cvt_f32_u32_e32 v10, s16
	v_cvt_f32_u32_e32 v11, s17
	s_sub_u32 s0, 0, s16
	s_subb_u32 s1, 0, s17
	v_madmk_f32 v10, v11, 0x4f800000, v10
	v_rcp_f32_e32 v10, v10
	v_mul_f32_e32 v10, 0x5f7ffffc, v10
	v_mul_f32_e32 v11, 0x2f800000, v10
	v_trunc_f32_e32 v11, v11
	v_madmk_f32 v10, v11, 0xcf800000, v10
	v_cvt_u32_f32_e32 v11, v11
	v_cvt_u32_f32_e32 v10, v10
	v_mul_lo_u32 v13, s0, v11
	v_mul_hi_u32 v15, s0, v10
	v_mul_lo_u32 v14, s1, v10
	v_add_u32_e32 v13, v15, v13
	v_mul_lo_u32 v16, s0, v10
	v_add_u32_e32 v13, v13, v14
	v_mul_hi_u32 v15, v10, v16
	v_mul_lo_u32 v17, v10, v13
	v_mul_hi_u32 v14, v10, v13
	v_add_co_u32_e32 v15, vcc, v15, v17
	v_addc_co_u32_e32 v14, vcc, 0, v14, vcc
	v_mul_hi_u32 v18, v11, v16
	v_mul_lo_u32 v16, v11, v16
	v_add_co_u32_e32 v15, vcc, v15, v16
	v_mul_hi_u32 v17, v11, v13
	v_addc_co_u32_e32 v14, vcc, v14, v18, vcc
	v_addc_co_u32_e32 v15, vcc, 0, v17, vcc
	v_mul_lo_u32 v13, v11, v13
	v_add_co_u32_e32 v13, vcc, v14, v13
	v_addc_co_u32_e32 v14, vcc, 0, v15, vcc
	v_add_co_u32_e32 v10, vcc, v10, v13
	v_addc_co_u32_e32 v11, vcc, v11, v14, vcc
	v_mul_lo_u32 v13, s0, v11
	v_mul_hi_u32 v14, s0, v10
	v_add_u32_e32 v13, v14, v13
	v_mul_lo_u32 v14, s1, v10
	v_add_u32_e32 v13, v13, v14
	v_mul_lo_u32 v15, s0, v10
	v_mul_hi_u32 v16, v11, v15
	v_mul_lo_u32 v17, v11, v15
	v_mul_lo_u32 v19, v10, v13
	v_mul_hi_u32 v15, v10, v15
	v_mul_hi_u32 v18, v10, v13
	v_add_co_u32_e32 v15, vcc, v15, v19
	v_addc_co_u32_e32 v18, vcc, 0, v18, vcc
	v_add_co_u32_e32 v15, vcc, v15, v17
	v_mul_hi_u32 v14, v11, v13
	v_addc_co_u32_e32 v15, vcc, v18, v16, vcc
	v_addc_co_u32_e32 v14, vcc, 0, v14, vcc
	v_mul_lo_u32 v13, v11, v13
	v_add_co_u32_e32 v13, vcc, v15, v13
	v_addc_co_u32_e32 v14, vcc, 0, v14, vcc
	v_add_co_u32_e32 v13, vcc, v10, v13
	v_addc_co_u32_e32 v14, vcc, v11, v14, vcc
	v_mad_u64_u32 v[10:11], s[0:1], v3, v14, 0
	v_mul_hi_u32 v15, v3, v13
	v_add_co_u32_e32 v16, vcc, v15, v10
	v_addc_co_u32_e32 v17, vcc, 0, v11, vcc
	v_mad_u64_u32 v[10:11], s[0:1], v12, v14, 0
	v_mad_u64_u32 v[14:15], s[0:1], v12, v13, 0
	v_add_co_u32_e32 v13, vcc, v16, v14
	v_addc_co_u32_e32 v13, vcc, v17, v15, vcc
	v_addc_co_u32_e32 v11, vcc, 0, v11, vcc
	v_add_co_u32_e32 v13, vcc, v13, v10
	v_addc_co_u32_e32 v14, vcc, 0, v11, vcc
	v_mul_lo_u32 v15, s17, v13
	v_mul_lo_u32 v16, s16, v14
	v_mad_u64_u32 v[10:11], s[0:1], s16, v13, 0
	v_add3_u32 v11, v11, v16, v15
	v_sub_u32_e32 v15, v12, v11
	v_mov_b32_e32 v16, s17
	v_sub_co_u32_e32 v10, vcc, v3, v10
	v_subb_co_u32_e64 v15, s[0:1], v15, v16, vcc
	v_subrev_co_u32_e64 v16, s[0:1], s16, v10
	v_subbrev_co_u32_e64 v15, s[0:1], 0, v15, s[0:1]
	v_cmp_le_u32_e64 s[0:1], s17, v15
	v_cndmask_b32_e64 v17, 0, -1, s[0:1]
	v_cmp_le_u32_e64 s[0:1], s16, v16
	v_cndmask_b32_e64 v16, 0, -1, s[0:1]
	v_cmp_eq_u32_e64 s[0:1], s17, v15
	v_cndmask_b32_e64 v15, v17, v16, s[0:1]
	v_add_co_u32_e64 v16, s[0:1], 2, v13
	v_addc_co_u32_e64 v17, s[0:1], 0, v14, s[0:1]
	v_add_co_u32_e64 v18, s[0:1], 1, v13
	v_addc_co_u32_e64 v19, s[0:1], 0, v14, s[0:1]
	v_subb_co_u32_e32 v11, vcc, v12, v11, vcc
	v_cmp_ne_u32_e64 s[0:1], 0, v15
	v_cmp_le_u32_e32 vcc, s17, v11
	v_cndmask_b32_e64 v15, v19, v17, s[0:1]
	v_cndmask_b32_e64 v17, 0, -1, vcc
	v_cmp_le_u32_e32 vcc, s16, v10
	v_cndmask_b32_e64 v10, 0, -1, vcc
	v_cmp_eq_u32_e32 vcc, s17, v11
	v_cndmask_b32_e32 v10, v17, v10, vcc
	v_cmp_ne_u32_e32 vcc, 0, v10
	v_cndmask_b32_e64 v10, v18, v16, s[0:1]
	v_cndmask_b32_e32 v11, v14, v15, vcc
	v_cndmask_b32_e32 v10, v13, v10, vcc
.LBB0_17:                               ;   in Loop: Header=BB0_3 Depth=1
	s_andn2_saveexec_b64 s[0:1], s[6:7]
	s_cbranch_execz .LBB0_2
; %bb.18:                               ;   in Loop: Header=BB0_3 Depth=1
	v_cvt_f32_u32_e32 v10, s16
	s_sub_i32 s6, 0, s16
	v_rcp_iflag_f32_e32 v10, v10
	v_mul_f32_e32 v10, 0x4f7ffffe, v10
	v_cvt_u32_f32_e32 v10, v10
	v_mul_lo_u32 v11, s6, v10
	v_mul_hi_u32 v11, v10, v11
	v_add_u32_e32 v10, v10, v11
	v_mul_hi_u32 v10, v3, v10
	v_mul_lo_u32 v11, v10, s16
	v_sub_u32_e32 v11, v3, v11
	v_add_u32_e32 v13, 1, v10
	v_subrev_u32_e32 v14, s16, v11
	v_cmp_le_u32_e32 vcc, s16, v11
	v_cndmask_b32_e32 v11, v11, v14, vcc
	v_cndmask_b32_e32 v10, v10, v13, vcc
	v_add_u32_e32 v13, 1, v10
	v_cmp_le_u32_e32 vcc, s16, v11
	v_cndmask_b32_e32 v10, v10, v13, vcc
	v_mov_b32_e32 v11, 0
	s_branch .LBB0_2
	.section	.rodata,"a",@progbits
	.p2align	6, 0x0
	.amdhsa_kernel UniversalTranspose
		.amdhsa_group_segment_fixed_size 0
		.amdhsa_private_segment_fixed_size 0
		.amdhsa_kernarg_size 392
		.amdhsa_user_sgpr_count 6
		.amdhsa_user_sgpr_private_segment_buffer 1
		.amdhsa_user_sgpr_dispatch_ptr 0
		.amdhsa_user_sgpr_queue_ptr 0
		.amdhsa_user_sgpr_kernarg_segment_ptr 1
		.amdhsa_user_sgpr_dispatch_id 0
		.amdhsa_user_sgpr_flat_scratch_init 0
		.amdhsa_user_sgpr_kernarg_preload_length 0
		.amdhsa_user_sgpr_kernarg_preload_offset 0
		.amdhsa_user_sgpr_private_segment_size 0
		.amdhsa_uses_dynamic_stack 0
		.amdhsa_system_sgpr_private_segment_wavefront_offset 0
		.amdhsa_system_sgpr_workgroup_id_x 1
		.amdhsa_system_sgpr_workgroup_id_y 0
		.amdhsa_system_sgpr_workgroup_id_z 0
		.amdhsa_system_sgpr_workgroup_info 0
		.amdhsa_system_vgpr_workitem_id 0
		.amdhsa_next_free_vgpr 25
		.amdhsa_next_free_sgpr 48
		.amdhsa_accum_offset 28
		.amdhsa_reserve_vcc 1
		.amdhsa_reserve_flat_scratch 0
		.amdhsa_float_round_mode_32 0
		.amdhsa_float_round_mode_16_64 0
		.amdhsa_float_denorm_mode_32 3
		.amdhsa_float_denorm_mode_16_64 3
		.amdhsa_dx10_clamp 1
		.amdhsa_ieee_mode 1
		.amdhsa_fp16_overflow 0
		.amdhsa_tg_split 0
		.amdhsa_exception_fp_ieee_invalid_op 0
		.amdhsa_exception_fp_denorm_src 0
		.amdhsa_exception_fp_ieee_div_zero 0
		.amdhsa_exception_fp_ieee_overflow 0
		.amdhsa_exception_fp_ieee_underflow 0
		.amdhsa_exception_fp_ieee_inexact 0
		.amdhsa_exception_int_div_zero 0
	.end_amdhsa_kernel
	.text
.Lfunc_end0:
	.size	UniversalTranspose, .Lfunc_end0-UniversalTranspose
                                        ; -- End function
	.section	.AMDGPU.csdata,"",@progbits
; Kernel info:
; codeLenInByte = 3908
; NumSgprs: 52
; NumVgprs: 25
; NumAgprs: 0
; TotalNumVgprs: 25
; ScratchSize: 0
; MemoryBound: 0
; FloatMode: 240
; IeeeMode: 1
; LDSByteSize: 0 bytes/workgroup (compile time only)
; SGPRBlocks: 6
; VGPRBlocks: 3
; NumSGPRsForWavesPerEU: 52
; NumVGPRsForWavesPerEU: 25
; AccumOffset: 28
; Occupancy: 8
; WaveLimiterHint : 0
; COMPUTE_PGM_RSRC2:SCRATCH_EN: 0
; COMPUTE_PGM_RSRC2:USER_SGPR: 6
; COMPUTE_PGM_RSRC2:TRAP_HANDLER: 0
; COMPUTE_PGM_RSRC2:TGID_X_EN: 1
; COMPUTE_PGM_RSRC2:TGID_Y_EN: 0
; COMPUTE_PGM_RSRC2:TGID_Z_EN: 0
; COMPUTE_PGM_RSRC2:TIDIG_COMP_CNT: 0
; COMPUTE_PGM_RSRC3_GFX90A:ACCUM_OFFSET: 6
; COMPUTE_PGM_RSRC3_GFX90A:TG_SPLIT: 0
	.text
	.protected	TiledTranspose          ; -- Begin function TiledTranspose
	.globl	TiledTranspose
	.p2align	8
	.type	TiledTranspose,@function
TiledTranspose:                         ; @TiledTranspose
; %bb.0:
	s_load_dwordx16 s[8:23], s[4:5], 0x10
	s_mov_b32 s50, 0
	s_mov_b32 s7, s50
	s_waitcnt lgkmcnt(0)
	s_add_u32 s0, s10, 15
	s_addc_u32 s1, s11, 0
	s_add_u32 s34, s16, 15
	v_mov_b32_e32 v1, s0
	s_addc_u32 s35, s17, 0
	v_mov_b32_e32 v2, s34
	v_alignbit_b32 v1, s1, v1, 4
	v_alignbit_b32 v2, s35, v2, 4
	v_readfirstlane_b32 s0, v2
	v_readfirstlane_b32 s2, v1
	s_lshr_b32 s1, s1, 4
	s_mul_i32 s44, s0, s2
	s_mul_hi_u32 s3, s0, s2
	s_mul_i32 s0, s0, s1
	s_lshr_b32 s1, s35, 4
	s_add_i32 s0, s3, s0
	s_mul_i32 s1, s1, s2
	s_add_i32 s45, s0, s1
	s_mul_i32 s0, s44, s15
	s_mul_hi_u32 s1, s44, s14
	s_add_i32 s0, s1, s0
	s_mul_i32 s1, s45, s14
	s_mul_i32 s46, s44, s14
	s_add_i32 s47, s0, s1
	s_mul_i32 s0, s46, s13
	s_mul_hi_u32 s1, s46, s12
	s_add_i32 s0, s1, s0
	s_mul_i32 s1, s47, s12
	s_mul_i32 s48, s46, s12
	s_add_i32 s49, s0, s1
	s_mul_i32 s1, s48, s9
	s_mul_hi_u32 s2, s48, s8
	s_mul_i32 s0, s49, s8
	s_add_i32 s1, s2, s1
	s_add_i32 s9, s1, s0
	s_mul_i32 s8, s48, s8
	v_pk_mov_b32 v[2:3], s[6:7], s[6:7] op_sel:[0,1]
	v_cmp_le_u64_e32 vcc, s[8:9], v[2:3]
	s_cbranch_vccnz .LBB1_25
; %bb.1:
	v_cvt_f32_u32_e32 v5, s48
	v_cvt_f32_u32_e32 v6, s49
	s_movk_i32 s0, 0x100
	v_cmp_gt_u32_e64 s[0:1], s0, v0
	v_lshrrev_b32_e32 v2, 4, v0
	v_mac_f32_e32 v5, 0x4f800000, v6
	v_and_b32_e32 v4, 15, v0
	v_rcp_f32_e32 v0, v5
	v_cvt_f32_u32_e32 v8, s48
	v_cvt_f32_u32_e32 v9, s46
	;; [unrolled: 1-line block ×3, first 2 shown]
	v_mul_f32_e32 v0, 0x5f7ffffc, v0
	v_mul_f32_e32 v7, 0x2f800000, v0
	v_trunc_f32_e32 v7, v7
	v_mac_f32_e32 v0, 0xcf800000, v7
	v_cvt_u32_f32_e32 v14, v0
	v_rcp_iflag_f32_e32 v0, v8
	v_mac_f32_e32 v9, 0x4f800000, v10
	v_rcp_f32_e32 v8, v9
	v_cvt_f32_u32_e32 v9, s44
	v_mul_f32_e32 v0, 0x4f7ffffe, v0
	v_cvt_u32_f32_e32 v16, v0
	v_mul_f32_e32 v0, 0x5f7ffffc, v8
	v_cvt_f32_u32_e32 v8, s46
	v_cvt_f32_u32_e32 v10, s45
	v_cvt_u32_f32_e32 v15, v7
	v_mul_f32_e32 v7, 0x2f800000, v0
	v_trunc_f32_e32 v7, v7
	v_mac_f32_e32 v0, 0xcf800000, v7
	v_cvt_u32_f32_e32 v17, v0
	v_rcp_iflag_f32_e32 v0, v8
	v_mac_f32_e32 v9, 0x4f800000, v10
	v_rcp_f32_e32 v8, v9
	s_lshr_b64 s[52:53], s[34:35], 4
	v_mul_f32_e32 v0, 0x4f7ffffe, v0
	v_cvt_u32_f32_e32 v19, v0
	v_mul_f32_e32 v0, 0x5f7ffffc, v8
	v_cvt_f32_u32_e32 v8, s44
	v_cvt_f32_u32_e32 v9, s52
	;; [unrolled: 1-line block ×3, first 2 shown]
	v_cvt_u32_f32_e32 v18, v7
	v_mul_f32_e32 v7, 0x2f800000, v0
	v_trunc_f32_e32 v7, v7
	v_mac_f32_e32 v0, 0xcf800000, v7
	v_cvt_u32_f32_e32 v20, v0
	v_rcp_iflag_f32_e32 v0, v8
	v_mac_f32_e32 v9, 0x4f800000, v10
	v_rcp_f32_e32 v8, v9
	v_cvt_u32_f32_e32 v21, v7
	v_mul_f32_e32 v0, 0x4f7ffffe, v0
	v_cvt_u32_f32_e32 v22, v0
	v_mul_f32_e32 v0, 0x5f7ffffc, v8
	v_mul_f32_e32 v7, 0x2f800000, v0
	v_trunc_f32_e32 v7, v7
	s_load_dwordx4 s[12:15], s[4:5], 0x0
	s_load_dwordx8 s[24:31], s[4:5], 0x50
	s_load_dwordx8 s[36:43], s[4:5], 0x70
	s_load_dword s33, s[4:5], 0x88
	v_mac_f32_e32 v0, 0xcf800000, v7
	v_cvt_u32_f32_e32 v23, v0
	v_cvt_u32_f32_e32 v24, v7
	v_mov_b32_e32 v1, 0
	v_lshlrev_b32_e32 v6, 2, v4
	s_movk_i32 s2, 0x44
	v_lshlrev_b32_e32 v0, 2, v2
	v_mov_b32_e32 v3, v1
	v_mov_b32_e32 v5, v1
	v_mad_u32_u24 v25, v2, s2, v6
	v_mad_u32_u24 v26, v4, s2, v0
	s_branch .LBB1_3
.LBB1_2:                                ;   in Loop: Header=BB1_3 Depth=1
	s_or_b64 exec, exec, s[56:57]
	s_add_u32 s6, s6, s33
	s_addc_u32 s7, s7, 0
	v_pk_mov_b32 v[6:7], s[8:9], s[8:9] op_sel:[0,1]
	v_cmp_ge_u64_e32 vcc, s[6:7], v[6:7]
	s_cbranch_vccnz .LBB1_25
.LBB1_3:                                ; =>This Inner Loop Header: Depth=1
	s_or_b64 s[2:3], s[6:7], s[48:49]
	s_mov_b32 s51, s3
	s_cmp_lg_u64 s[50:51], 0
	s_cbranch_scc0 .LBB1_21
; %bb.4:                                ;   in Loop: Header=BB1_3 Depth=1
	s_sub_u32 s2, 0, s48
	v_readfirstlane_b32 s4, v14
	s_waitcnt lgkmcnt(0)
	v_readfirstlane_b32 s43, v15
	s_subb_u32 s3, 0, s49
	s_mul_hi_u32 s42, s2, s4
	s_mul_i32 s51, s2, s43
	s_mul_i32 s5, s3, s4
	s_add_i32 s42, s42, s51
	s_add_i32 s42, s42, s5
	s_mul_i32 s54, s2, s4
	s_mul_hi_u32 s5, s4, s42
	s_mul_i32 s51, s4, s42
	s_mul_hi_u32 s4, s4, s54
	s_add_u32 s4, s4, s51
	s_addc_u32 s5, 0, s5
	s_mul_hi_u32 s55, s43, s54
	s_mul_i32 s54, s43, s54
	s_add_u32 s4, s4, s54
	s_mul_hi_u32 s51, s43, s42
	s_addc_u32 s4, s5, s55
	s_addc_u32 s5, s51, 0
	s_mul_i32 s42, s43, s42
	s_add_u32 s4, s4, s42
	s_addc_u32 s5, 0, s5
	v_add_co_u32_e32 v0, vcc, s4, v14
	s_cmp_lg_u64 vcc, 0
	s_addc_u32 s4, s43, s5
	v_readfirstlane_b32 s42, v0
	s_mul_i32 s5, s2, s4
	s_mul_hi_u32 s43, s2, s42
	s_add_i32 s5, s43, s5
	s_mul_i32 s3, s3, s42
	s_add_i32 s5, s5, s3
	s_mul_i32 s2, s2, s42
	s_mul_hi_u32 s43, s4, s2
	s_mul_i32 s51, s4, s2
	s_mul_i32 s55, s42, s5
	s_mul_hi_u32 s2, s42, s2
	s_mul_hi_u32 s54, s42, s5
	s_add_u32 s2, s2, s55
	s_addc_u32 s42, 0, s54
	s_add_u32 s2, s2, s51
	s_mul_hi_u32 s3, s4, s5
	s_addc_u32 s2, s42, s43
	s_addc_u32 s3, s3, 0
	s_mul_i32 s5, s4, s5
	s_add_u32 s2, s2, s5
	s_addc_u32 s3, 0, s3
	v_add_co_u32_e32 v0, vcc, s2, v0
	s_cmp_lg_u64 vcc, 0
	s_addc_u32 s2, s4, s3
	v_readfirstlane_b32 s5, v0
	s_mul_i32 s4, s6, s2
	s_mul_hi_u32 s42, s6, s5
	s_mul_hi_u32 s3, s6, s2
	s_add_u32 s4, s42, s4
	s_addc_u32 s3, 0, s3
	s_mul_hi_u32 s43, s7, s5
	s_mul_i32 s5, s7, s5
	s_add_u32 s4, s4, s5
	s_mul_hi_u32 s42, s7, s2
	s_addc_u32 s3, s3, s43
	s_addc_u32 s4, s42, 0
	s_mul_i32 s2, s7, s2
	s_add_u32 s42, s3, s2
	s_addc_u32 s4, 0, s4
	s_mul_i32 s2, s48, s4
	s_mul_hi_u32 s3, s48, s42
	s_add_i32 s2, s3, s2
	s_mul_i32 s3, s49, s42
	s_add_i32 s5, s2, s3
	s_mul_i32 s3, s48, s42
	v_mov_b32_e32 v0, s3
	s_sub_i32 s2, s7, s5
	v_sub_co_u32_e32 v0, vcc, s6, v0
	s_cmp_lg_u64 vcc, 0
	s_subb_u32 s43, s2, s49
	v_subrev_co_u32_e64 v6, s[2:3], s48, v0
	s_cmp_lg_u64 s[2:3], 0
	s_subb_u32 s2, s43, 0
	s_cmp_ge_u32 s2, s49
	v_readfirstlane_b32 s43, v6
	s_cselect_b32 s3, -1, 0
	s_cmp_ge_u32 s43, s48
	s_cselect_b32 s43, -1, 0
	s_cmp_eq_u32 s2, s49
	s_cselect_b32 s2, s43, s3
	s_add_u32 s3, s42, 1
	s_addc_u32 s43, s4, 0
	s_add_u32 s51, s42, 2
	s_addc_u32 s54, s4, 0
	s_cmp_lg_u32 s2, 0
	s_cselect_b32 s2, s51, s3
	s_cselect_b32 s3, s54, s43
	s_cmp_lg_u64 vcc, 0
	s_subb_u32 s5, s7, s5
	s_cmp_ge_u32 s5, s49
	v_readfirstlane_b32 s51, v0
	s_cselect_b32 s43, -1, 0
	s_cmp_ge_u32 s51, s48
	s_cselect_b32 s51, -1, 0
	s_cmp_eq_u32 s5, s49
	s_cselect_b32 s5, s51, s43
	s_cmp_lg_u32 s5, 0
	s_cselect_b32 s5, s3, s4
	s_cselect_b32 s4, s2, s42
	s_cbranch_execnz .LBB1_6
.LBB1_5:                                ;   in Loop: Header=BB1_3 Depth=1
	s_sub_i32 s2, 0, s48
	v_readfirstlane_b32 s3, v16
	s_mul_i32 s2, s2, s3
	s_mul_hi_u32 s2, s3, s2
	s_add_i32 s3, s3, s2
	s_mul_hi_u32 s2, s6, s3
	s_mul_i32 s4, s2, s48
	s_sub_i32 s4, s6, s4
	s_add_i32 s3, s2, 1
	s_sub_i32 s5, s4, s48
	s_cmp_ge_u32 s4, s48
	s_cselect_b32 s2, s3, s2
	s_cselect_b32 s4, s5, s4
	s_add_i32 s3, s2, 1
	s_cmp_ge_u32 s4, s48
	s_cselect_b32 s4, s3, s2
	s_mov_b32 s5, s50
.LBB1_6:                                ;   in Loop: Header=BB1_3 Depth=1
	s_mul_i32 s2, s4, s49
	s_mul_hi_u32 s3, s4, s48
	s_add_i32 s2, s3, s2
	s_mul_i32 s3, s5, s48
	s_add_i32 s2, s2, s3
	s_mul_i32 s3, s4, s48
	s_sub_u32 s54, s6, s3
	s_subb_u32 s55, s7, s2
	s_or_b64 s[2:3], s[54:55], s[46:47]
	s_mov_b32 s51, s3
	s_cmp_lg_u64 s[50:51], 0
	s_cbranch_scc0 .LBB1_22
; %bb.7:                                ;   in Loop: Header=BB1_3 Depth=1
	s_sub_u32 s2, 0, s46
	s_waitcnt lgkmcnt(0)
	v_readfirstlane_b32 s42, v17
	v_readfirstlane_b32 s56, v18
	s_subb_u32 s3, 0, s47
	s_mul_hi_u32 s51, s2, s42
	s_mul_i32 s57, s2, s56
	s_mul_i32 s43, s3, s42
	s_add_i32 s51, s51, s57
	s_add_i32 s51, s51, s43
	s_mul_i32 s58, s2, s42
	s_mul_hi_u32 s43, s42, s51
	s_mul_i32 s57, s42, s51
	s_mul_hi_u32 s42, s42, s58
	s_add_u32 s42, s42, s57
	s_addc_u32 s43, 0, s43
	s_mul_hi_u32 s59, s56, s58
	s_mul_i32 s58, s56, s58
	s_add_u32 s42, s42, s58
	s_mul_hi_u32 s57, s56, s51
	s_addc_u32 s42, s43, s59
	s_addc_u32 s43, s57, 0
	s_mul_i32 s51, s56, s51
	s_add_u32 s42, s42, s51
	s_addc_u32 s43, 0, s43
	v_add_co_u32_e32 v0, vcc, s42, v17
	s_cmp_lg_u64 vcc, 0
	s_addc_u32 s42, s56, s43
	v_readfirstlane_b32 s51, v0
	s_mul_i32 s43, s2, s42
	s_mul_hi_u32 s56, s2, s51
	s_add_i32 s43, s56, s43
	s_mul_i32 s3, s3, s51
	s_add_i32 s43, s43, s3
	s_mul_i32 s2, s2, s51
	s_mul_hi_u32 s56, s42, s2
	s_mul_i32 s57, s42, s2
	s_mul_i32 s59, s51, s43
	s_mul_hi_u32 s2, s51, s2
	s_mul_hi_u32 s58, s51, s43
	s_add_u32 s2, s2, s59
	s_addc_u32 s51, 0, s58
	s_add_u32 s2, s2, s57
	s_mul_hi_u32 s3, s42, s43
	s_addc_u32 s2, s51, s56
	s_addc_u32 s3, s3, 0
	s_mul_i32 s43, s42, s43
	s_add_u32 s2, s2, s43
	s_addc_u32 s3, 0, s3
	v_add_co_u32_e32 v0, vcc, s2, v0
	s_cmp_lg_u64 vcc, 0
	s_addc_u32 s2, s42, s3
	v_readfirstlane_b32 s43, v0
	s_mul_i32 s42, s54, s2
	s_mul_hi_u32 s51, s54, s43
	s_mul_hi_u32 s3, s54, s2
	s_add_u32 s42, s51, s42
	s_addc_u32 s3, 0, s3
	s_mul_hi_u32 s56, s55, s43
	s_mul_i32 s43, s55, s43
	s_add_u32 s42, s42, s43
	s_mul_hi_u32 s51, s55, s2
	s_addc_u32 s3, s3, s56
	s_addc_u32 s42, s51, 0
	s_mul_i32 s2, s55, s2
	s_add_u32 s51, s3, s2
	s_addc_u32 s42, 0, s42
	s_mul_i32 s2, s46, s42
	s_mul_hi_u32 s3, s46, s51
	s_add_i32 s2, s3, s2
	s_mul_i32 s3, s47, s51
	s_add_i32 s43, s2, s3
	s_mul_i32 s3, s46, s51
	v_mov_b32_e32 v0, s3
	s_sub_i32 s2, s55, s43
	v_sub_co_u32_e32 v0, vcc, s54, v0
	s_cmp_lg_u64 vcc, 0
	s_subb_u32 s56, s2, s47
	v_subrev_co_u32_e64 v6, s[2:3], s46, v0
	s_cmp_lg_u64 s[2:3], 0
	s_subb_u32 s2, s56, 0
	s_cmp_ge_u32 s2, s47
	v_readfirstlane_b32 s56, v6
	s_cselect_b32 s3, -1, 0
	s_cmp_ge_u32 s56, s46
	s_cselect_b32 s56, -1, 0
	s_cmp_eq_u32 s2, s47
	s_cselect_b32 s2, s56, s3
	s_add_u32 s3, s51, 1
	s_addc_u32 s56, s42, 0
	s_add_u32 s57, s51, 2
	s_addc_u32 s58, s42, 0
	s_cmp_lg_u32 s2, 0
	s_cselect_b32 s2, s57, s3
	s_cselect_b32 s3, s58, s56
	s_cmp_lg_u64 vcc, 0
	s_subb_u32 s43, s55, s43
	s_cmp_ge_u32 s43, s47
	v_readfirstlane_b32 s57, v0
	s_cselect_b32 s56, -1, 0
	s_cmp_ge_u32 s57, s46
	s_cselect_b32 s57, -1, 0
	s_cmp_eq_u32 s43, s47
	s_cselect_b32 s43, s57, s56
	s_cmp_lg_u32 s43, 0
	s_cselect_b32 s43, s3, s42
	s_cselect_b32 s42, s2, s51
	s_cbranch_execnz .LBB1_9
.LBB1_8:                                ;   in Loop: Header=BB1_3 Depth=1
	s_sub_i32 s2, 0, s46
	v_readfirstlane_b32 s3, v19
	s_mul_i32 s2, s2, s3
	s_mul_hi_u32 s2, s3, s2
	s_add_i32 s3, s3, s2
	s_mul_hi_u32 s2, s54, s3
	s_waitcnt lgkmcnt(0)
	s_mul_i32 s42, s2, s46
	s_sub_i32 s42, s54, s42
	s_add_i32 s3, s2, 1
	s_sub_i32 s43, s42, s46
	s_cmp_ge_u32 s42, s46
	s_cselect_b32 s2, s3, s2
	s_cselect_b32 s42, s43, s42
	s_add_i32 s3, s2, 1
	s_cmp_ge_u32 s42, s46
	s_cselect_b32 s42, s3, s2
	s_mov_b32 s43, s50
.LBB1_9:                                ;   in Loop: Header=BB1_3 Depth=1
	s_waitcnt lgkmcnt(0)
	s_mul_i32 s2, s42, s47
	s_mul_hi_u32 s3, s42, s46
	s_add_i32 s2, s3, s2
	s_mul_i32 s3, s43, s46
	s_add_i32 s2, s2, s3
	s_mul_i32 s3, s42, s46
	s_sub_u32 s56, s54, s3
	s_subb_u32 s57, s55, s2
	s_or_b64 s[2:3], s[56:57], s[44:45]
	s_mov_b32 s51, s3
	s_cmp_lg_u64 s[50:51], 0
	s_cbranch_scc0 .LBB1_23
; %bb.10:                               ;   in Loop: Header=BB1_3 Depth=1
	s_sub_u32 s2, 0, s44
	v_readfirstlane_b32 s51, v20
	v_readfirstlane_b32 s58, v21
	s_subb_u32 s3, 0, s45
	s_mul_hi_u32 s55, s2, s51
	s_mul_i32 s59, s2, s58
	s_mul_i32 s54, s3, s51
	s_add_i32 s55, s55, s59
	s_add_i32 s55, s55, s54
	s_mul_i32 s60, s2, s51
	s_mul_hi_u32 s54, s51, s55
	s_mul_i32 s59, s51, s55
	s_mul_hi_u32 s51, s51, s60
	s_add_u32 s51, s51, s59
	s_addc_u32 s54, 0, s54
	s_mul_hi_u32 s61, s58, s60
	s_mul_i32 s60, s58, s60
	s_add_u32 s51, s51, s60
	s_mul_hi_u32 s59, s58, s55
	s_addc_u32 s51, s54, s61
	s_addc_u32 s54, s59, 0
	s_mul_i32 s55, s58, s55
	s_add_u32 s51, s51, s55
	s_addc_u32 s54, 0, s54
	v_add_co_u32_e32 v0, vcc, s51, v20
	s_cmp_lg_u64 vcc, 0
	s_addc_u32 s51, s58, s54
	v_readfirstlane_b32 s55, v0
	s_mul_i32 s54, s2, s51
	s_mul_hi_u32 s58, s2, s55
	s_add_i32 s54, s58, s54
	s_mul_i32 s3, s3, s55
	s_add_i32 s54, s54, s3
	s_mul_i32 s2, s2, s55
	s_mul_hi_u32 s58, s51, s2
	s_mul_i32 s59, s51, s2
	s_mul_i32 s61, s55, s54
	s_mul_hi_u32 s2, s55, s2
	s_mul_hi_u32 s60, s55, s54
	s_add_u32 s2, s2, s61
	s_addc_u32 s55, 0, s60
	s_add_u32 s2, s2, s59
	s_mul_hi_u32 s3, s51, s54
	s_addc_u32 s2, s55, s58
	s_addc_u32 s3, s3, 0
	s_mul_i32 s54, s51, s54
	s_add_u32 s2, s2, s54
	s_addc_u32 s3, 0, s3
	v_add_co_u32_e32 v0, vcc, s2, v0
	s_cmp_lg_u64 vcc, 0
	s_addc_u32 s2, s51, s3
	v_readfirstlane_b32 s54, v0
	s_mul_i32 s51, s56, s2
	s_mul_hi_u32 s55, s56, s54
	s_mul_hi_u32 s3, s56, s2
	s_add_u32 s51, s55, s51
	s_addc_u32 s3, 0, s3
	s_mul_hi_u32 s58, s57, s54
	s_mul_i32 s54, s57, s54
	s_add_u32 s51, s51, s54
	s_mul_hi_u32 s55, s57, s2
	s_addc_u32 s3, s3, s58
	s_addc_u32 s51, s55, 0
	s_mul_i32 s2, s57, s2
	s_add_u32 s54, s3, s2
	s_addc_u32 s51, 0, s51
	s_mul_i32 s2, s44, s51
	s_mul_hi_u32 s3, s44, s54
	s_add_i32 s2, s3, s2
	s_mul_i32 s3, s45, s54
	s_add_i32 s55, s2, s3
	s_mul_i32 s3, s44, s54
	v_mov_b32_e32 v0, s3
	s_sub_i32 s2, s57, s55
	v_sub_co_u32_e32 v0, vcc, s56, v0
	s_cmp_lg_u64 vcc, 0
	s_subb_u32 s58, s2, s45
	v_subrev_co_u32_e64 v6, s[2:3], s44, v0
	s_cmp_lg_u64 s[2:3], 0
	s_subb_u32 s2, s58, 0
	s_cmp_ge_u32 s2, s45
	v_readfirstlane_b32 s58, v6
	s_cselect_b32 s3, -1, 0
	s_cmp_ge_u32 s58, s44
	s_cselect_b32 s58, -1, 0
	s_cmp_eq_u32 s2, s45
	s_cselect_b32 s2, s58, s3
	s_add_u32 s3, s54, 1
	s_addc_u32 s58, s51, 0
	s_add_u32 s59, s54, 2
	s_addc_u32 s60, s51, 0
	s_cmp_lg_u32 s2, 0
	s_cselect_b32 s2, s59, s3
	s_cselect_b32 s3, s60, s58
	s_cmp_lg_u64 vcc, 0
	s_subb_u32 s55, s57, s55
	s_cmp_ge_u32 s55, s45
	v_readfirstlane_b32 s59, v0
	s_cselect_b32 s58, -1, 0
	s_cmp_ge_u32 s59, s44
	s_cselect_b32 s59, -1, 0
	s_cmp_eq_u32 s55, s45
	s_cselect_b32 s55, s59, s58
	s_cmp_lg_u32 s55, 0
	s_cselect_b32 s55, s3, s51
	s_cselect_b32 s54, s2, s54
	s_cbranch_execnz .LBB1_12
.LBB1_11:                               ;   in Loop: Header=BB1_3 Depth=1
	s_sub_i32 s2, 0, s44
	v_readfirstlane_b32 s3, v22
	s_mul_i32 s2, s2, s3
	s_mul_hi_u32 s2, s3, s2
	s_add_i32 s3, s3, s2
	s_mul_hi_u32 s2, s56, s3
	s_mul_i32 s51, s2, s44
	s_sub_i32 s51, s56, s51
	s_add_i32 s3, s2, 1
	s_sub_i32 s54, s51, s44
	s_cmp_ge_u32 s51, s44
	s_cselect_b32 s2, s3, s2
	s_cselect_b32 s51, s54, s51
	s_add_i32 s3, s2, 1
	s_cmp_ge_u32 s51, s44
	s_cselect_b32 s54, s3, s2
	s_mov_b32 s55, s50
.LBB1_12:                               ;   in Loop: Header=BB1_3 Depth=1
	s_mul_i32 s2, s54, s45
	s_mul_hi_u32 s3, s54, s44
	s_add_i32 s2, s3, s2
	s_mul_i32 s3, s55, s44
	s_add_i32 s2, s2, s3
	s_mul_i32 s3, s54, s44
	s_sub_u32 s56, s56, s3
	s_subb_u32 s57, s57, s2
	s_or_b64 s[2:3], s[56:57], s[52:53]
	s_mov_b32 s51, s3
	s_cmp_lg_u64 s[50:51], 0
	s_cbranch_scc0 .LBB1_24
; %bb.13:                               ;   in Loop: Header=BB1_3 Depth=1
	s_sub_u32 s2, 0, s52
	s_subb_u32 s3, 0, s53
	v_mul_hi_u32 v6, s2, v23
	v_mul_lo_u32 v7, s2, v24
	v_mul_lo_u32 v0, s3, v23
	v_add_u32_e32 v6, v6, v7
	v_add_u32_e32 v0, v6, v0
	v_mul_lo_u32 v8, s2, v23
	v_mul_lo_u32 v7, v23, v0
	v_mul_hi_u32 v9, v23, v8
	v_mul_hi_u32 v6, v23, v0
	v_add_co_u32_e32 v7, vcc, v9, v7
	v_addc_co_u32_e32 v6, vcc, 0, v6, vcc
	v_mul_hi_u32 v10, v24, v8
	v_mul_lo_u32 v8, v24, v8
	v_add_co_u32_e32 v7, vcc, v7, v8
	v_mul_hi_u32 v9, v24, v0
	v_addc_co_u32_e32 v6, vcc, v6, v10, vcc
	v_addc_co_u32_e32 v7, vcc, 0, v9, vcc
	v_mul_lo_u32 v0, v24, v0
	v_add_co_u32_e32 v0, vcc, v6, v0
	v_addc_co_u32_e32 v6, vcc, 0, v7, vcc
	v_add_co_u32_e32 v0, vcc, v23, v0
	v_addc_co_u32_e32 v6, vcc, v24, v6, vcc
	v_mul_lo_u32 v7, s2, v6
	v_mul_hi_u32 v8, s2, v0
	v_add_u32_e32 v7, v8, v7
	v_mul_lo_u32 v8, s3, v0
	v_add_u32_e32 v7, v7, v8
	v_mul_lo_u32 v9, s2, v0
	v_mul_hi_u32 v10, v6, v9
	v_mul_lo_u32 v11, v6, v9
	v_mul_lo_u32 v13, v0, v7
	v_mul_hi_u32 v9, v0, v9
	v_mul_hi_u32 v12, v0, v7
	v_add_co_u32_e32 v9, vcc, v9, v13
	v_addc_co_u32_e32 v12, vcc, 0, v12, vcc
	v_add_co_u32_e32 v9, vcc, v9, v11
	v_mul_hi_u32 v8, v6, v7
	v_addc_co_u32_e32 v9, vcc, v12, v10, vcc
	v_addc_co_u32_e32 v8, vcc, 0, v8, vcc
	v_mul_lo_u32 v7, v6, v7
	v_add_co_u32_e32 v7, vcc, v9, v7
	v_addc_co_u32_e32 v8, vcc, 0, v8, vcc
	v_add_co_u32_e32 v0, vcc, v0, v7
	v_addc_co_u32_e32 v6, vcc, v6, v8, vcc
	v_mul_lo_u32 v8, s56, v6
	v_mul_hi_u32 v9, s56, v0
	v_mul_hi_u32 v7, s56, v6
	v_add_co_u32_e32 v8, vcc, v9, v8
	v_addc_co_u32_e32 v7, vcc, 0, v7, vcc
	v_mul_hi_u32 v10, s57, v0
	v_mul_lo_u32 v0, s57, v0
	v_add_co_u32_e32 v0, vcc, v8, v0
	v_mul_hi_u32 v9, s57, v6
	v_addc_co_u32_e32 v0, vcc, v7, v10, vcc
	v_addc_co_u32_e32 v7, vcc, 0, v9, vcc
	v_mul_lo_u32 v6, s57, v6
	v_add_co_u32_e32 v0, vcc, v0, v6
	v_addc_co_u32_e32 v6, vcc, 0, v7, vcc
	v_mul_lo_u32 v7, s52, v6
	v_mul_hi_u32 v8, s52, v0
	v_add_u32_e32 v7, v8, v7
	v_mul_lo_u32 v8, s53, v0
	v_add_u32_e32 v7, v7, v8
	v_mul_lo_u32 v9, s52, v0
	v_sub_u32_e32 v8, s57, v7
	v_mov_b32_e32 v10, s53
	v_sub_co_u32_e32 v9, vcc, s56, v9
	v_subb_co_u32_e64 v8, s[2:3], v8, v10, vcc
	v_subrev_co_u32_e64 v10, s[2:3], s52, v9
	v_subbrev_co_u32_e64 v8, s[2:3], 0, v8, s[2:3]
	v_cmp_le_u32_e64 s[2:3], s53, v8
	v_cndmask_b32_e64 v11, 0, -1, s[2:3]
	v_cmp_le_u32_e64 s[2:3], s52, v10
	v_cndmask_b32_e64 v10, 0, -1, s[2:3]
	v_cmp_eq_u32_e64 s[2:3], s53, v8
	v_cndmask_b32_e64 v8, v11, v10, s[2:3]
	v_add_co_u32_e64 v10, s[2:3], 1, v0
	v_addc_co_u32_e64 v11, s[2:3], 0, v6, s[2:3]
	v_add_co_u32_e64 v12, s[2:3], 2, v0
	v_addc_co_u32_e64 v13, s[2:3], 0, v6, s[2:3]
	v_cmp_ne_u32_e64 s[2:3], 0, v8
	v_cndmask_b32_e64 v8, v10, v12, s[2:3]
	v_cndmask_b32_e64 v10, v11, v13, s[2:3]
	v_mov_b32_e32 v11, s57
	v_subb_co_u32_e32 v7, vcc, v11, v7, vcc
	v_cmp_le_u32_e32 vcc, s53, v7
	v_cndmask_b32_e64 v11, 0, -1, vcc
	v_cmp_le_u32_e32 vcc, s52, v9
	v_cndmask_b32_e64 v9, 0, -1, vcc
	v_cmp_eq_u32_e32 vcc, s53, v7
	v_cndmask_b32_e32 v7, v11, v9, vcc
	v_cmp_ne_u32_e32 vcc, 0, v7
	v_cndmask_b32_e32 v7, v6, v10, vcc
	v_cndmask_b32_e32 v6, v0, v8, vcc
	s_cbranch_execnz .LBB1_15
.LBB1_14:                               ;   in Loop: Header=BB1_3 Depth=1
	v_mov_b32_e32 v0, s34
	v_alignbit_b32 v0, s35, v0, 4
	v_cvt_f32_u32_e32 v6, v0
	v_sub_u32_e32 v7, 0, v0
	v_rcp_iflag_f32_e32 v6, v6
	v_mul_f32_e32 v6, 0x4f7ffffe, v6
	v_cvt_u32_f32_e32 v6, v6
	v_mul_lo_u32 v7, v7, v6
	v_mul_hi_u32 v7, v6, v7
	v_add_u32_e32 v6, v6, v7
	v_mul_hi_u32 v6, s56, v6
	v_mul_lo_u32 v8, v6, v0
	v_sub_u32_e32 v8, s56, v8
	v_add_u32_e32 v7, 1, v6
	v_sub_u32_e32 v9, v8, v0
	v_cmp_ge_u32_e32 vcc, v8, v0
	v_cndmask_b32_e32 v8, v8, v9, vcc
	v_cndmask_b32_e32 v6, v6, v7, vcc
	v_add_u32_e32 v7, 1, v6
	v_cmp_ge_u32_e32 vcc, v8, v0
	v_cndmask_b32_e32 v0, v6, v7, vcc
	v_pk_mov_b32 v[6:7], v[0:1], v[0:1] op_sel:[0,1]
.LBB1_15:                               ;   in Loop: Header=BB1_3 Depth=1
	v_mul_lo_u32 v0, v6, s53
	v_mul_hi_u32 v8, v6, s52
	v_add_u32_e32 v0, v8, v0
	v_mul_lo_u32 v8, v7, s52
	v_add_u32_e32 v0, v0, v8
	v_mul_lo_u32 v8, v6, s52
	v_mov_b32_e32 v9, s57
	v_sub_co_u32_e32 v10, vcc, s56, v8
	v_subb_co_u32_e32 v11, vcc, v9, v0, vcc
	v_lshlrev_b64 v[8:9], 4, v[6:7]
	v_lshlrev_b64 v[6:7], 4, v[10:11]
	v_add_co_u32_e32 v10, vcc, 16, v8
	v_addc_co_u32_e32 v11, vcc, 0, v9, vcc
	v_mov_b32_e32 v0, s11
	v_sub_co_u32_e32 v12, vcc, s10, v8
	v_subb_co_u32_e32 v0, vcc, v0, v9, vcc
	v_cmp_lt_u64_e32 vcc, s[10:11], v[10:11]
	v_cndmask_b32_e32 v11, 0, v0, vcc
	v_cndmask_b32_e32 v10, 16, v12, vcc
	v_add_co_u32_e32 v12, vcc, 16, v6
	v_addc_co_u32_e32 v13, vcc, 0, v7, vcc
	v_mov_b32_e32 v0, s17
	v_sub_co_u32_e32 v27, vcc, s16, v6
	v_subb_co_u32_e32 v0, vcc, v0, v7, vcc
	v_cmp_lt_u64_e32 vcc, s[16:17], v[12:13]
	v_cndmask_b32_e32 v13, 0, v0, vcc
	v_cndmask_b32_e32 v12, 16, v27, vcc
	s_and_saveexec_b64 s[56:57], s[0:1]
	s_cbranch_execz .LBB1_18
; %bb.16:                               ;   in Loop: Header=BB1_3 Depth=1
	v_cmp_lt_u64_e32 vcc, v[2:3], v[10:11]
	v_cmp_lt_u64_e64 s[2:3], v[4:5], v[12:13]
	s_and_b64 s[2:3], vcc, s[2:3]
	s_and_b64 exec, exec, s[2:3]
	s_cbranch_execz .LBB1_18
; %bb.17:                               ;   in Loop: Header=BB1_3 Depth=1
	s_mul_i32 s2, s4, s19
	s_mul_hi_u32 s3, s4, s18
	s_add_i32 s2, s3, s2
	s_mul_i32 s3, s5, s18
	s_add_i32 s3, s2, s3
	s_mul_i32 s2, s4, s18
	s_lshl_b64 s[2:3], s[2:3], 2
	s_add_u32 s51, s12, s2
	s_addc_u32 s58, s13, s3
	s_mul_i32 s2, s42, s23
	s_mul_hi_u32 s3, s42, s22
	s_add_i32 s2, s3, s2
	s_mul_i32 s3, s43, s22
	s_add_i32 s3, s2, s3
	s_mul_i32 s2, s42, s22
	s_lshl_b64 s[2:3], s[2:3], 2
	s_add_u32 s51, s51, s2
	s_addc_u32 s58, s58, s3
	s_mul_i32 s2, s54, s25
	s_mul_hi_u32 s3, s54, s24
	s_add_i32 s2, s3, s2
	s_mul_i32 s3, s55, s24
	s_add_i32 s3, s2, s3
	s_mul_i32 s2, s54, s24
	s_lshl_b64 s[2:3], s[2:3], 2
	s_add_u32 s51, s51, s2
	v_or_b32_e32 v0, v2, v8
	s_addc_u32 s58, s58, s3
	v_mul_lo_u32 v30, v9, s20
	v_mul_lo_u32 v31, v0, s21
	v_mad_u64_u32 v[28:29], s[2:3], v0, s20, 0
	v_or_b32_e32 v27, v4, v6
	v_add3_u32 v29, v29, v31, v30
	v_mul_lo_u32 v0, v7, s26
	v_mul_lo_u32 v32, v27, s27
	v_mad_u64_u32 v[30:31], s[2:3], v27, s26, 0
	v_lshlrev_b64 v[28:29], 2, v[28:29]
	v_add3_u32 v31, v31, v32, v0
	v_mov_b32_e32 v0, s58
	v_add_co_u32_e32 v27, vcc, s51, v28
	v_addc_co_u32_e32 v0, vcc, v0, v29, vcc
	v_lshlrev_b64 v[28:29], 2, v[30:31]
	v_add_co_u32_e32 v28, vcc, v27, v28
	v_addc_co_u32_e32 v29, vcc, v0, v29, vcc
	global_load_dword v0, v[28:29], off
	s_waitcnt vmcnt(0)
	ds_write_b32 v25, v0
.LBB1_18:                               ;   in Loop: Header=BB1_3 Depth=1
	s_or_b64 exec, exec, s[56:57]
	s_waitcnt lgkmcnt(0)
	s_barrier
	s_and_saveexec_b64 s[56:57], s[0:1]
	s_cbranch_execz .LBB1_2
; %bb.19:                               ;   in Loop: Header=BB1_3 Depth=1
	v_cmp_lt_u64_e32 vcc, v[4:5], v[10:11]
	v_cmp_lt_u64_e64 s[2:3], v[2:3], v[12:13]
	s_and_b64 s[2:3], vcc, s[2:3]
	s_and_b64 exec, exec, s[2:3]
	s_cbranch_execz .LBB1_2
; %bb.20:                               ;   in Loop: Header=BB1_3 Depth=1
	s_mul_i32 s2, s4, s29
	s_mul_hi_u32 s3, s4, s28
	s_add_i32 s2, s3, s2
	s_mul_i32 s3, s5, s28
	s_add_i32 s3, s2, s3
	s_mul_i32 s2, s4, s28
	s_mul_i32 s4, s42, s37
	s_mul_hi_u32 s5, s42, s36
	s_add_i32 s4, s5, s4
	s_mul_i32 s5, s43, s36
	s_add_i32 s5, s4, s5
	s_mul_i32 s4, s42, s36
	s_mul_i32 s42, s54, s39
	s_mul_hi_u32 s43, s54, s38
	s_add_i32 s42, s43, s42
	s_mul_i32 s43, s55, s38
	s_add_i32 s43, s42, s43
	s_lshl_b64 s[2:3], s[2:3], 2
	s_add_u32 s51, s14, s2
	s_mul_i32 s42, s54, s38
	s_addc_u32 s54, s15, s3
	s_lshl_b64 s[2:3], s[4:5], 2
	s_add_u32 s4, s51, s2
	s_addc_u32 s5, s54, s3
	s_lshl_b64 s[2:3], s[42:43], 2
	s_add_u32 s4, s4, s2
	v_or_b32_e32 v0, v4, v8
	s_addc_u32 s5, s5, s3
	v_or_b32_e32 v6, v2, v6
	v_mul_lo_u32 v10, v9, s30
	v_mul_lo_u32 v11, v0, s31
	v_mad_u64_u32 v[8:9], s[2:3], v0, s30, 0
	v_add3_u32 v9, v9, v11, v10
	v_mul_lo_u32 v0, v7, s40
	v_mul_lo_u32 v10, v6, s41
	v_mad_u64_u32 v[6:7], s[2:3], v6, s40, 0
	v_add3_u32 v7, v7, v10, v0
	ds_read_b32 v0, v26
	v_lshlrev_b64 v[8:9], 2, v[8:9]
	v_mov_b32_e32 v10, s5
	v_add_co_u32_e32 v8, vcc, s4, v8
	v_addc_co_u32_e32 v9, vcc, v10, v9, vcc
	v_lshlrev_b64 v[6:7], 2, v[6:7]
	v_add_co_u32_e32 v6, vcc, v8, v6
	v_addc_co_u32_e32 v7, vcc, v9, v7, vcc
	s_waitcnt lgkmcnt(0)
	global_store_dword v[6:7], v0, off
	s_barrier
	s_branch .LBB1_2
.LBB1_21:                               ;   in Loop: Header=BB1_3 Depth=1
                                        ; implicit-def: $sgpr4_sgpr5
	s_branch .LBB1_5
.LBB1_22:                               ;   in Loop: Header=BB1_3 Depth=1
                                        ; implicit-def: $sgpr42_sgpr43
	s_branch .LBB1_8
.LBB1_23:                               ;   in Loop: Header=BB1_3 Depth=1
                                        ; implicit-def: $sgpr54_sgpr55
	s_branch .LBB1_11
.LBB1_24:                               ;   in Loop: Header=BB1_3 Depth=1
                                        ; implicit-def: $vgpr6_vgpr7
	s_branch .LBB1_14
.LBB1_25:
	s_endpgm
	.section	.rodata,"a",@progbits
	.p2align	6, 0x0
	.amdhsa_kernel TiledTranspose
		.amdhsa_group_segment_fixed_size 1088
		.amdhsa_private_segment_fixed_size 0
		.amdhsa_kernarg_size 392
		.amdhsa_user_sgpr_count 6
		.amdhsa_user_sgpr_private_segment_buffer 1
		.amdhsa_user_sgpr_dispatch_ptr 0
		.amdhsa_user_sgpr_queue_ptr 0
		.amdhsa_user_sgpr_kernarg_segment_ptr 1
		.amdhsa_user_sgpr_dispatch_id 0
		.amdhsa_user_sgpr_flat_scratch_init 0
		.amdhsa_user_sgpr_kernarg_preload_length 0
		.amdhsa_user_sgpr_kernarg_preload_offset 0
		.amdhsa_user_sgpr_private_segment_size 0
		.amdhsa_uses_dynamic_stack 0
		.amdhsa_system_sgpr_private_segment_wavefront_offset 0
		.amdhsa_system_sgpr_workgroup_id_x 1
		.amdhsa_system_sgpr_workgroup_id_y 0
		.amdhsa_system_sgpr_workgroup_id_z 0
		.amdhsa_system_sgpr_workgroup_info 0
		.amdhsa_system_vgpr_workitem_id 0
		.amdhsa_next_free_vgpr 33
		.amdhsa_next_free_sgpr 62
		.amdhsa_accum_offset 36
		.amdhsa_reserve_vcc 1
		.amdhsa_reserve_flat_scratch 0
		.amdhsa_float_round_mode_32 0
		.amdhsa_float_round_mode_16_64 0
		.amdhsa_float_denorm_mode_32 3
		.amdhsa_float_denorm_mode_16_64 3
		.amdhsa_dx10_clamp 1
		.amdhsa_ieee_mode 1
		.amdhsa_fp16_overflow 0
		.amdhsa_tg_split 0
		.amdhsa_exception_fp_ieee_invalid_op 0
		.amdhsa_exception_fp_denorm_src 0
		.amdhsa_exception_fp_ieee_div_zero 0
		.amdhsa_exception_fp_ieee_overflow 0
		.amdhsa_exception_fp_ieee_underflow 0
		.amdhsa_exception_fp_ieee_inexact 0
		.amdhsa_exception_int_div_zero 0
	.end_amdhsa_kernel
	.text
.Lfunc_end1:
	.size	TiledTranspose, .Lfunc_end1-TiledTranspose
                                        ; -- End function
	.section	.AMDGPU.csdata,"",@progbits
; Kernel info:
; codeLenInByte = 3692
; NumSgprs: 66
; NumVgprs: 33
; NumAgprs: 0
; TotalNumVgprs: 33
; ScratchSize: 0
; MemoryBound: 0
; FloatMode: 240
; IeeeMode: 1
; LDSByteSize: 1088 bytes/workgroup (compile time only)
; SGPRBlocks: 8
; VGPRBlocks: 4
; NumSGPRsForWavesPerEU: 66
; NumVGPRsForWavesPerEU: 33
; AccumOffset: 36
; Occupancy: 8
; WaveLimiterHint : 0
; COMPUTE_PGM_RSRC2:SCRATCH_EN: 0
; COMPUTE_PGM_RSRC2:USER_SGPR: 6
; COMPUTE_PGM_RSRC2:TRAP_HANDLER: 0
; COMPUTE_PGM_RSRC2:TGID_X_EN: 1
; COMPUTE_PGM_RSRC2:TGID_Y_EN: 0
; COMPUTE_PGM_RSRC2:TGID_Z_EN: 0
; COMPUTE_PGM_RSRC2:TIDIG_COMP_CNT: 0
; COMPUTE_PGM_RSRC3_GFX90A:ACCUM_OFFSET: 8
; COMPUTE_PGM_RSRC3_GFX90A:TG_SPLIT: 0
	.text
	.protected	VectorizedTranspose     ; -- Begin function VectorizedTranspose
	.globl	VectorizedTranspose
	.p2align	8
	.type	VectorizedTranspose,@function
VectorizedTranspose:                    ; @VectorizedTranspose
; %bb.0:
	s_load_dwordx4 s[36:39], s[4:5], 0x0
	s_load_dwordx4 s[40:43], s[4:5], 0x70
	s_load_dword s0, s[4:5], 0x88
	s_load_dwordx16 s[8:23], s[4:5], 0x10
	s_load_dwordx8 s[24:31], s[4:5], 0x50
	s_load_dword s7, s[4:5], 0x90
	s_load_dword s33, s[4:5], 0x9c
	s_waitcnt lgkmcnt(0)
	s_bitcmp1_b32 s0, 0
	s_cselect_b64 s[34:35], -1, 0
	s_bitcmp1_b32 s0, 8
	s_cselect_b64 s[0:1], -1, 0
	s_and_b32 s44, s33, 0xffff
	s_mul_hi_u32 s33, s44, s7
	s_mul_i32 s48, s44, s7
	v_mov_b32_e32 v1, 0
	v_mov_b32_e32 v2, s6
	s_and_b64 s[6:7], s[34:35], s[0:1]
	s_mov_b64 s[2:3], -1
	s_andn2_b64 vcc, exec, s[6:7]
	v_mad_u64_u32 v[0:1], s[6:7], s44, v2, v[0:1]
	s_cbranch_vccz .LBB2_13
; %bb.1:
	s_load_dwordx4 s[4:7], s[4:5], 0x80
	s_waitcnt lgkmcnt(0)
	s_xor_b64 s[6:7], s[34:35], -1
	s_and_b64 vcc, exec, s[6:7]
	s_cbranch_vccz .LBB2_9
; %bb.2:
	s_xor_b64 s[0:1], s[0:1], -1
	s_andn2_b64 vcc, exec, s[0:1]
	s_mov_b64 s[0:1], -1
	s_cbranch_vccnz .LBB2_5
; %bb.3:
	s_mul_i32 s0, s16, s15
	s_mul_hi_u32 s1, s16, s14
	s_add_i32 s46, s1, s0
	s_mul_i32 s0, s17, s14
	s_mul_i32 s47, s16, s14
	s_add_i32 s46, s46, s0
	s_mul_i32 s0, s47, s13
	s_mul_hi_u32 s1, s47, s12
	s_add_i32 s49, s1, s0
	s_mul_i32 s0, s46, s12
	s_mul_i32 s50, s47, s12
	s_add_i32 s49, s49, s0
	s_mul_i32 s1, s50, s11
	s_mul_hi_u32 s2, s50, s10
	s_mul_i32 s0, s49, s10
	s_add_i32 s51, s2, s1
	s_mul_i32 s52, s50, s10
	s_add_i32 s51, s51, s0
	s_mul_i32 s1, s52, s9
	s_mul_hi_u32 s2, s52, s8
	s_mul_i32 s0, s51, s8
	s_add_i32 s1, s2, s1
	s_add_i32 s3, s1, s0
	s_mul_i32 s2, s52, s8
	v_cmp_gt_u64_e32 vcc, s[2:3], v[0:1]
	s_mov_b64 s[6:7], 0
	v_pk_mov_b32 v[2:3], v[0:1], v[0:1] op_sel:[0,1]
	s_and_saveexec_b64 s[34:35], vcc
	s_cbranch_execnz .LBB2_51
.LBB2_4:
	s_or_b64 exec, exec, s[34:35]
	s_mov_b64 s[0:1], 0
.LBB2_5:
	s_andn2_b64 vcc, exec, s[0:1]
	s_cbranch_vccnz .LBB2_8
; %bb.6:
	v_mov_b32_e32 v2, s16
	v_alignbit_b32 v2, s17, v2, 2
	v_readfirstlane_b32 s50, v2
	s_mul_i32 s0, s50, s15
	s_mul_hi_u32 s1, s50, s14
	s_add_i32 s49, s1, s0
	s_lshr_b32 s0, s17, 2
	s_mul_i32 s0, s0, s14
	s_mul_i32 s50, s50, s14
	s_add_i32 s49, s49, s0
	s_mul_i32 s0, s50, s13
	s_mul_hi_u32 s1, s50, s12
	s_add_i32 s51, s1, s0
	s_mul_i32 s0, s49, s12
	s_mul_i32 s52, s50, s12
	s_add_i32 s51, s51, s0
	s_mul_i32 s1, s52, s11
	s_mul_hi_u32 s6, s52, s10
	s_mul_i32 s0, s51, s10
	s_add_i32 s53, s6, s1
	s_mul_i32 s54, s52, s10
	s_add_i32 s53, s53, s0
	s_mul_i32 s1, s54, s9
	s_mul_hi_u32 s6, s54, s8
	s_mul_i32 s0, s53, s8
	s_add_i32 s1, s6, s1
	s_add_i32 s7, s1, s0
	s_mul_i32 s6, s54, s8
	s_lshr_b64 s[2:3], s[16:17], 2
	v_cmp_gt_u64_e32 vcc, s[6:7], v[0:1]
	s_mov_b64 s[34:35], 0
	v_pk_mov_b32 v[2:3], v[0:1], v[0:1] op_sel:[0,1]
	s_and_saveexec_b64 s[44:45], vcc
	s_cbranch_execnz .LBB2_68
.LBB2_7:
	s_or_b64 exec, exec, s[44:45]
.LBB2_8:
	s_mov_b64 s[2:3], 0
.LBB2_9:
	s_andn2_b64 vcc, exec, s[2:3]
	s_cbranch_vccnz .LBB2_12
; %bb.10:
	v_mov_b32_e32 v2, s16
	v_alignbit_b32 v2, s17, v2, 2
	v_readfirstlane_b32 s47, v2
	s_mul_i32 s0, s47, s15
	s_mul_hi_u32 s1, s47, s14
	s_add_i32 s46, s1, s0
	s_lshr_b32 s0, s17, 2
	s_mul_i32 s0, s0, s14
	s_mul_i32 s47, s47, s14
	s_add_i32 s46, s46, s0
	s_mul_i32 s0, s47, s13
	s_mul_hi_u32 s1, s47, s12
	s_add_i32 s49, s1, s0
	s_mul_i32 s0, s46, s12
	s_mul_i32 s50, s47, s12
	s_add_i32 s49, s49, s0
	s_mul_i32 s1, s50, s11
	s_mul_hi_u32 s6, s50, s10
	s_mul_i32 s0, s49, s10
	s_add_i32 s51, s6, s1
	s_mul_i32 s52, s50, s10
	s_add_i32 s51, s51, s0
	s_mul_i32 s1, s52, s9
	s_mul_hi_u32 s6, s52, s8
	s_mul_i32 s0, s51, s8
	s_add_i32 s1, s6, s1
	s_add_i32 s7, s1, s0
	s_mul_i32 s6, s52, s8
	s_lshr_b64 s[2:3], s[16:17], 2
	v_cmp_gt_u64_e32 vcc, s[6:7], v[0:1]
	s_mov_b64 s[26:27], 0
	v_pk_mov_b32 v[2:3], v[0:1], v[0:1] op_sel:[0,1]
	s_and_saveexec_b64 s[34:35], vcc
	s_cbranch_execnz .LBB2_34
.LBB2_11:
	s_or_b64 exec, exec, s[34:35]
.LBB2_12:
	s_mov_b64 s[2:3], 0
.LBB2_13:
	s_andn2_b64 vcc, exec, s[2:3]
	s_cbranch_vccnz .LBB2_15
; %bb.14:
	v_mov_b32_e32 v2, s16
	v_alignbit_b32 v2, s17, v2, 2
	v_readfirstlane_b32 s0, v2
	s_mul_i32 s1, s0, s15
	s_mul_hi_u32 s4, s0, s14
	s_add_i32 s15, s4, s1
	s_lshr_b32 s1, s17, 2
	s_mul_i32 s1, s1, s14
	s_mul_i32 s14, s0, s14
	s_add_i32 s15, s15, s1
	s_mul_i32 s0, s14, s13
	s_mul_hi_u32 s1, s14, s12
	s_add_i32 s13, s1, s0
	s_mul_i32 s0, s15, s12
	s_mul_i32 s12, s14, s12
	s_add_i32 s13, s13, s0
	s_mul_i32 s1, s12, s11
	s_mul_hi_u32 s4, s12, s10
	s_mul_i32 s0, s13, s10
	s_add_i32 s11, s4, s1
	s_mul_i32 s10, s12, s10
	s_add_i32 s11, s11, s0
	s_mul_i32 s1, s10, s9
	s_mul_hi_u32 s4, s10, s8
	s_mul_i32 s0, s11, s8
	s_add_i32 s1, s4, s1
	s_add_i32 s5, s1, s0
	s_mul_i32 s4, s10, s8
	s_lshr_b64 s[2:3], s[16:17], 2
	v_cmp_gt_u64_e32 vcc, s[4:5], v[0:1]
	s_mov_b64 s[6:7], 0
	s_and_saveexec_b64 s[0:1], vcc
	s_cbranch_execnz .LBB2_17
.LBB2_15:
	s_endpgm
.LBB2_16:                               ;   in Loop: Header=BB2_17 Depth=1
	s_or_b64 exec, exec, s[0:1]
	v_mul_lo_u32 v14, v9, s2
	v_mul_lo_u32 v15, v8, s3
	v_mad_u64_u32 v[12:13], s[0:1], v8, s2, 0
	v_add3_u32 v13, v13, v15, v14
	v_sub_co_u32_e32 v10, vcc, v10, v12
	v_subb_co_u32_e32 v11, vcc, v11, v13, vcc
	v_mul_lo_u32 v14, v3, s18
	v_mul_lo_u32 v15, v2, s19
	v_mad_u64_u32 v[12:13], s[0:1], v2, s18, 0
	v_add3_u32 v13, v13, v15, v14
	v_mul_lo_u32 v16, v5, s20
	v_mul_lo_u32 v17, v4, s21
	v_mad_u64_u32 v[14:15], s[0:1], v4, s20, 0
	v_add3_u32 v15, v15, v17, v16
	;; [unrolled: 4-line block ×3, first 2 shown]
	v_mul_lo_u32 v20, v9, s24
	v_mul_lo_u32 v21, v8, s25
	v_mad_u64_u32 v[18:19], s[0:1], v8, s24, 0
	v_lshlrev_b64 v[12:13], 2, v[12:13]
	v_add3_u32 v19, v19, v21, v20
	v_mov_b32_e32 v20, s37
	v_add_co_u32_e32 v21, vcc, s36, v12
	v_addc_co_u32_e32 v20, vcc, v20, v13, vcc
	v_lshlrev_b64 v[12:13], 2, v[14:15]
	v_add_co_u32_e32 v14, vcc, v21, v12
	v_addc_co_u32_e32 v15, vcc, v20, v13, vcc
	v_lshlrev_b64 v[12:13], 2, v[16:17]
	;; [unrolled: 3-line block ×4, first 2 shown]
	v_add_co_u32_e32 v10, vcc, v12, v14
	v_addc_co_u32_e32 v11, vcc, v13, v15, vcc
	global_load_dwordx4 v[10:13], v[10:11], off
	v_mul_lo_u32 v16, v3, s28
	v_mul_lo_u32 v17, v2, s29
	v_mad_u64_u32 v[2:3], s[0:1], v2, s28, 0
	v_add3_u32 v3, v3, v17, v16
	v_mul_lo_u32 v16, v5, s30
	v_mul_lo_u32 v17, v4, s31
	v_mad_u64_u32 v[4:5], s[0:1], v4, s30, 0
	v_add3_u32 v5, v5, v17, v16
	;; [unrolled: 4-line block ×3, first 2 shown]
	v_mul_lo_u32 v16, v9, s42
	v_mul_lo_u32 v17, v8, s43
	v_mad_u64_u32 v[8:9], s[0:1], v8, s42, 0
	v_lshlrev_b64 v[2:3], 2, v[2:3]
	v_add3_u32 v9, v9, v17, v16
	v_mov_b32_e32 v16, s39
	v_add_co_u32_e32 v17, vcc, s38, v2
	v_addc_co_u32_e32 v16, vcc, v16, v3, vcc
	v_lshlrev_b64 v[2:3], 2, v[4:5]
	v_add_co_u32_e32 v4, vcc, v17, v2
	v_addc_co_u32_e32 v5, vcc, v16, v3, vcc
	v_lshlrev_b64 v[2:3], 2, v[6:7]
	;; [unrolled: 3-line block ×3, first 2 shown]
	v_add_co_u32_e32 v2, vcc, v4, v2
	v_addc_co_u32_e32 v3, vcc, v5, v3, vcc
	v_add_co_u32_e32 v2, vcc, v2, v14
	v_addc_co_u32_e32 v3, vcc, v3, v15, vcc
	v_mov_b32_e32 v4, s33
	v_add_co_u32_e32 v0, vcc, s48, v0
	v_addc_co_u32_e32 v1, vcc, v1, v4, vcc
	v_cmp_le_u64_e32 vcc, s[4:5], v[0:1]
	s_or_b64 s[6:7], vcc, s[6:7]
	s_waitcnt vmcnt(0)
	global_store_dwordx4 v[2:3], v[10:13], off
	s_andn2_b64 exec, exec, s[6:7]
	s_cbranch_execz .LBB2_15
.LBB2_17:                               ; =>This Inner Loop Header: Depth=1
	v_or_b32_e32 v3, s11, v1
	v_mov_b32_e32 v2, 0
	v_cmp_ne_u64_e32 vcc, 0, v[2:3]
                                        ; implicit-def: $vgpr2_vgpr3
	s_and_saveexec_b64 s[0:1], vcc
	s_xor_b64 s[8:9], exec, s[0:1]
	s_cbranch_execz .LBB2_19
; %bb.18:                               ;   in Loop: Header=BB2_17 Depth=1
	v_cvt_f32_u32_e32 v2, s10
	v_cvt_f32_u32_e32 v3, s11
	s_sub_u32 s0, 0, s10
	s_subb_u32 s1, 0, s11
	v_madmk_f32 v2, v3, 0x4f800000, v2
	v_rcp_f32_e32 v2, v2
	v_mul_f32_e32 v2, 0x5f7ffffc, v2
	v_mul_f32_e32 v3, 0x2f800000, v2
	v_trunc_f32_e32 v3, v3
	v_madmk_f32 v2, v3, 0xcf800000, v2
	v_cvt_u32_f32_e32 v3, v3
	v_cvt_u32_f32_e32 v2, v2
	v_mul_lo_u32 v4, s0, v3
	v_mul_hi_u32 v6, s0, v2
	v_mul_lo_u32 v5, s1, v2
	v_add_u32_e32 v4, v6, v4
	v_mul_lo_u32 v7, s0, v2
	v_add_u32_e32 v4, v4, v5
	v_mul_hi_u32 v6, v2, v7
	v_mul_lo_u32 v8, v2, v4
	v_mul_hi_u32 v5, v2, v4
	v_add_co_u32_e32 v6, vcc, v6, v8
	v_addc_co_u32_e32 v5, vcc, 0, v5, vcc
	v_mul_hi_u32 v9, v3, v7
	v_mul_lo_u32 v7, v3, v7
	v_add_co_u32_e32 v6, vcc, v6, v7
	v_mul_hi_u32 v8, v3, v4
	v_addc_co_u32_e32 v5, vcc, v5, v9, vcc
	v_addc_co_u32_e32 v6, vcc, 0, v8, vcc
	v_mul_lo_u32 v4, v3, v4
	v_add_co_u32_e32 v4, vcc, v5, v4
	v_addc_co_u32_e32 v5, vcc, 0, v6, vcc
	v_add_co_u32_e32 v2, vcc, v2, v4
	v_addc_co_u32_e32 v3, vcc, v3, v5, vcc
	v_mul_lo_u32 v4, s0, v3
	v_mul_hi_u32 v5, s0, v2
	v_add_u32_e32 v4, v5, v4
	v_mul_lo_u32 v5, s1, v2
	v_add_u32_e32 v4, v4, v5
	v_mul_lo_u32 v6, s0, v2
	v_mul_hi_u32 v7, v3, v6
	v_mul_lo_u32 v8, v3, v6
	v_mul_lo_u32 v10, v2, v4
	v_mul_hi_u32 v6, v2, v6
	v_mul_hi_u32 v9, v2, v4
	v_add_co_u32_e32 v6, vcc, v6, v10
	v_addc_co_u32_e32 v9, vcc, 0, v9, vcc
	v_add_co_u32_e32 v6, vcc, v6, v8
	v_mul_hi_u32 v5, v3, v4
	v_addc_co_u32_e32 v6, vcc, v9, v7, vcc
	v_addc_co_u32_e32 v5, vcc, 0, v5, vcc
	v_mul_lo_u32 v4, v3, v4
	v_add_co_u32_e32 v4, vcc, v6, v4
	v_addc_co_u32_e32 v5, vcc, 0, v5, vcc
	v_add_co_u32_e32 v4, vcc, v2, v4
	v_addc_co_u32_e32 v5, vcc, v3, v5, vcc
	v_mad_u64_u32 v[2:3], s[0:1], v0, v5, 0
	v_mul_hi_u32 v6, v0, v4
	v_add_co_u32_e32 v6, vcc, v6, v2
	v_addc_co_u32_e32 v7, vcc, 0, v3, vcc
	v_mad_u64_u32 v[2:3], s[0:1], v1, v5, 0
	v_mad_u64_u32 v[4:5], s[0:1], v1, v4, 0
	v_add_co_u32_e32 v4, vcc, v6, v4
	v_addc_co_u32_e32 v4, vcc, v7, v5, vcc
	v_addc_co_u32_e32 v3, vcc, 0, v3, vcc
	v_add_co_u32_e32 v4, vcc, v4, v2
	v_addc_co_u32_e32 v5, vcc, 0, v3, vcc
	v_mul_lo_u32 v6, s11, v4
	v_mul_lo_u32 v7, s10, v5
	v_mad_u64_u32 v[2:3], s[0:1], s10, v4, 0
	v_add3_u32 v3, v3, v7, v6
	v_sub_u32_e32 v6, v1, v3
	v_mov_b32_e32 v7, s11
	v_sub_co_u32_e32 v2, vcc, v0, v2
	v_subb_co_u32_e64 v6, s[0:1], v6, v7, vcc
	v_subrev_co_u32_e64 v7, s[0:1], s10, v2
	v_subbrev_co_u32_e64 v6, s[0:1], 0, v6, s[0:1]
	v_cmp_le_u32_e64 s[0:1], s11, v6
	v_cndmask_b32_e64 v8, 0, -1, s[0:1]
	v_cmp_le_u32_e64 s[0:1], s10, v7
	v_cndmask_b32_e64 v7, 0, -1, s[0:1]
	v_cmp_eq_u32_e64 s[0:1], s11, v6
	v_cndmask_b32_e64 v6, v8, v7, s[0:1]
	v_add_co_u32_e64 v7, s[0:1], 2, v4
	v_addc_co_u32_e64 v8, s[0:1], 0, v5, s[0:1]
	v_add_co_u32_e64 v9, s[0:1], 1, v4
	v_addc_co_u32_e64 v10, s[0:1], 0, v5, s[0:1]
	v_subb_co_u32_e32 v3, vcc, v1, v3, vcc
	v_cmp_ne_u32_e64 s[0:1], 0, v6
	v_cmp_le_u32_e32 vcc, s11, v3
	v_cndmask_b32_e64 v6, v10, v8, s[0:1]
	v_cndmask_b32_e64 v8, 0, -1, vcc
	v_cmp_le_u32_e32 vcc, s10, v2
	v_cndmask_b32_e64 v2, 0, -1, vcc
	v_cmp_eq_u32_e32 vcc, s11, v3
	v_cndmask_b32_e32 v2, v8, v2, vcc
	v_cmp_ne_u32_e32 vcc, 0, v2
	v_cndmask_b32_e64 v2, v9, v7, s[0:1]
	v_cndmask_b32_e32 v3, v5, v6, vcc
	v_cndmask_b32_e32 v2, v4, v2, vcc
.LBB2_19:                               ;   in Loop: Header=BB2_17 Depth=1
	s_andn2_saveexec_b64 s[0:1], s[8:9]
	s_cbranch_execz .LBB2_21
; %bb.20:                               ;   in Loop: Header=BB2_17 Depth=1
	v_cvt_f32_u32_e32 v2, s10
	s_sub_i32 s8, 0, s10
	v_rcp_iflag_f32_e32 v2, v2
	v_mul_f32_e32 v2, 0x4f7ffffe, v2
	v_cvt_u32_f32_e32 v2, v2
	v_mul_lo_u32 v3, s8, v2
	v_mul_hi_u32 v3, v2, v3
	v_add_u32_e32 v2, v2, v3
	v_mul_hi_u32 v2, v0, v2
	v_mul_lo_u32 v3, v2, s10
	v_sub_u32_e32 v3, v0, v3
	v_add_u32_e32 v4, 1, v2
	v_subrev_u32_e32 v5, s10, v3
	v_cmp_le_u32_e32 vcc, s10, v3
	v_cndmask_b32_e32 v3, v3, v5, vcc
	v_cndmask_b32_e32 v2, v2, v4, vcc
	v_add_u32_e32 v4, 1, v2
	v_cmp_le_u32_e32 vcc, s10, v3
	v_cndmask_b32_e32 v2, v2, v4, vcc
	v_mov_b32_e32 v3, 0
.LBB2_21:                               ;   in Loop: Header=BB2_17 Depth=1
	s_or_b64 exec, exec, s[0:1]
	v_mul_lo_u32 v6, v3, s10
	v_mul_lo_u32 v7, v2, s11
	v_mad_u64_u32 v[4:5], s[0:1], v2, s10, 0
	v_add3_u32 v5, v5, v7, v6
	v_sub_co_u32_e32 v6, vcc, v0, v4
	v_subb_co_u32_e32 v7, vcc, v1, v5, vcc
	v_or_b32_e32 v5, s13, v7
	v_mov_b32_e32 v4, 0
	v_cmp_ne_u64_e32 vcc, 0, v[4:5]
                                        ; implicit-def: $vgpr4_vgpr5
	s_and_saveexec_b64 s[0:1], vcc
	s_xor_b64 s[8:9], exec, s[0:1]
	s_cbranch_execz .LBB2_23
; %bb.22:                               ;   in Loop: Header=BB2_17 Depth=1
	v_cvt_f32_u32_e32 v4, s12
	v_cvt_f32_u32_e32 v5, s13
	s_sub_u32 s0, 0, s12
	s_subb_u32 s1, 0, s13
	v_madmk_f32 v4, v5, 0x4f800000, v4
	v_rcp_f32_e32 v4, v4
	v_mul_f32_e32 v4, 0x5f7ffffc, v4
	v_mul_f32_e32 v5, 0x2f800000, v4
	v_trunc_f32_e32 v5, v5
	v_madmk_f32 v4, v5, 0xcf800000, v4
	v_cvt_u32_f32_e32 v5, v5
	v_cvt_u32_f32_e32 v4, v4
	v_mul_lo_u32 v8, s0, v5
	v_mul_hi_u32 v10, s0, v4
	v_mul_lo_u32 v9, s1, v4
	v_add_u32_e32 v8, v10, v8
	v_mul_lo_u32 v11, s0, v4
	v_add_u32_e32 v8, v8, v9
	v_mul_hi_u32 v10, v4, v11
	v_mul_lo_u32 v12, v4, v8
	v_mul_hi_u32 v9, v4, v8
	v_add_co_u32_e32 v10, vcc, v10, v12
	v_addc_co_u32_e32 v9, vcc, 0, v9, vcc
	v_mul_hi_u32 v13, v5, v11
	v_mul_lo_u32 v11, v5, v11
	v_add_co_u32_e32 v10, vcc, v10, v11
	v_mul_hi_u32 v12, v5, v8
	v_addc_co_u32_e32 v9, vcc, v9, v13, vcc
	v_addc_co_u32_e32 v10, vcc, 0, v12, vcc
	v_mul_lo_u32 v8, v5, v8
	v_add_co_u32_e32 v8, vcc, v9, v8
	v_addc_co_u32_e32 v9, vcc, 0, v10, vcc
	v_add_co_u32_e32 v4, vcc, v4, v8
	v_addc_co_u32_e32 v5, vcc, v5, v9, vcc
	v_mul_lo_u32 v8, s0, v5
	v_mul_hi_u32 v9, s0, v4
	v_add_u32_e32 v8, v9, v8
	v_mul_lo_u32 v9, s1, v4
	v_add_u32_e32 v8, v8, v9
	v_mul_lo_u32 v10, s0, v4
	v_mul_hi_u32 v11, v5, v10
	v_mul_lo_u32 v12, v5, v10
	v_mul_lo_u32 v14, v4, v8
	v_mul_hi_u32 v10, v4, v10
	v_mul_hi_u32 v13, v4, v8
	v_add_co_u32_e32 v10, vcc, v10, v14
	v_addc_co_u32_e32 v13, vcc, 0, v13, vcc
	v_add_co_u32_e32 v10, vcc, v10, v12
	v_mul_hi_u32 v9, v5, v8
	v_addc_co_u32_e32 v10, vcc, v13, v11, vcc
	v_addc_co_u32_e32 v9, vcc, 0, v9, vcc
	v_mul_lo_u32 v8, v5, v8
	v_add_co_u32_e32 v8, vcc, v10, v8
	v_addc_co_u32_e32 v9, vcc, 0, v9, vcc
	v_add_co_u32_e32 v8, vcc, v4, v8
	v_addc_co_u32_e32 v9, vcc, v5, v9, vcc
	v_mad_u64_u32 v[4:5], s[0:1], v6, v9, 0
	v_mul_hi_u32 v10, v6, v8
	v_add_co_u32_e32 v10, vcc, v10, v4
	v_addc_co_u32_e32 v11, vcc, 0, v5, vcc
	v_mad_u64_u32 v[4:5], s[0:1], v7, v9, 0
	v_mad_u64_u32 v[8:9], s[0:1], v7, v8, 0
	v_add_co_u32_e32 v8, vcc, v10, v8
	v_addc_co_u32_e32 v8, vcc, v11, v9, vcc
	v_addc_co_u32_e32 v5, vcc, 0, v5, vcc
	v_add_co_u32_e32 v8, vcc, v8, v4
	v_addc_co_u32_e32 v9, vcc, 0, v5, vcc
	v_mul_lo_u32 v10, s13, v8
	v_mul_lo_u32 v11, s12, v9
	v_mad_u64_u32 v[4:5], s[0:1], s12, v8, 0
	v_add3_u32 v5, v5, v11, v10
	v_sub_u32_e32 v10, v7, v5
	v_mov_b32_e32 v11, s13
	v_sub_co_u32_e32 v4, vcc, v6, v4
	v_subb_co_u32_e64 v10, s[0:1], v10, v11, vcc
	v_subrev_co_u32_e64 v11, s[0:1], s12, v4
	v_subbrev_co_u32_e64 v10, s[0:1], 0, v10, s[0:1]
	v_cmp_le_u32_e64 s[0:1], s13, v10
	v_cndmask_b32_e64 v12, 0, -1, s[0:1]
	v_cmp_le_u32_e64 s[0:1], s12, v11
	v_cndmask_b32_e64 v11, 0, -1, s[0:1]
	v_cmp_eq_u32_e64 s[0:1], s13, v10
	v_cndmask_b32_e64 v10, v12, v11, s[0:1]
	v_add_co_u32_e64 v11, s[0:1], 2, v8
	v_addc_co_u32_e64 v12, s[0:1], 0, v9, s[0:1]
	v_add_co_u32_e64 v13, s[0:1], 1, v8
	v_addc_co_u32_e64 v14, s[0:1], 0, v9, s[0:1]
	v_subb_co_u32_e32 v5, vcc, v7, v5, vcc
	v_cmp_ne_u32_e64 s[0:1], 0, v10
	v_cmp_le_u32_e32 vcc, s13, v5
	v_cndmask_b32_e64 v10, v14, v12, s[0:1]
	v_cndmask_b32_e64 v12, 0, -1, vcc
	v_cmp_le_u32_e32 vcc, s12, v4
	v_cndmask_b32_e64 v4, 0, -1, vcc
	v_cmp_eq_u32_e32 vcc, s13, v5
	v_cndmask_b32_e32 v4, v12, v4, vcc
	v_cmp_ne_u32_e32 vcc, 0, v4
	v_cndmask_b32_e64 v4, v13, v11, s[0:1]
	v_cndmask_b32_e32 v5, v9, v10, vcc
	v_cndmask_b32_e32 v4, v8, v4, vcc
.LBB2_23:                               ;   in Loop: Header=BB2_17 Depth=1
	s_andn2_saveexec_b64 s[0:1], s[8:9]
	s_cbranch_execz .LBB2_25
; %bb.24:                               ;   in Loop: Header=BB2_17 Depth=1
	v_cvt_f32_u32_e32 v4, s12
	s_sub_i32 s8, 0, s12
	v_rcp_iflag_f32_e32 v4, v4
	v_mul_f32_e32 v4, 0x4f7ffffe, v4
	v_cvt_u32_f32_e32 v4, v4
	v_mul_lo_u32 v5, s8, v4
	v_mul_hi_u32 v5, v4, v5
	v_add_u32_e32 v4, v4, v5
	v_mul_hi_u32 v4, v6, v4
	v_mul_lo_u32 v5, v4, s12
	v_sub_u32_e32 v5, v6, v5
	v_add_u32_e32 v8, 1, v4
	v_subrev_u32_e32 v9, s12, v5
	v_cmp_le_u32_e32 vcc, s12, v5
	v_cndmask_b32_e32 v5, v5, v9, vcc
	v_cndmask_b32_e32 v4, v4, v8, vcc
	v_add_u32_e32 v8, 1, v4
	v_cmp_le_u32_e32 vcc, s12, v5
	v_cndmask_b32_e32 v4, v4, v8, vcc
	v_mov_b32_e32 v5, 0
.LBB2_25:                               ;   in Loop: Header=BB2_17 Depth=1
	s_or_b64 exec, exec, s[0:1]
	v_mul_lo_u32 v10, v5, s12
	v_mul_lo_u32 v11, v4, s13
	v_mad_u64_u32 v[8:9], s[0:1], v4, s12, 0
	v_add3_u32 v9, v9, v11, v10
	v_sub_co_u32_e32 v8, vcc, v6, v8
	v_subb_co_u32_e32 v9, vcc, v7, v9, vcc
	v_or_b32_e32 v7, s15, v9
	v_mov_b32_e32 v6, 0
	v_cmp_ne_u64_e32 vcc, 0, v[6:7]
                                        ; implicit-def: $vgpr6_vgpr7
	s_and_saveexec_b64 s[0:1], vcc
	s_xor_b64 s[8:9], exec, s[0:1]
	s_cbranch_execz .LBB2_27
; %bb.26:                               ;   in Loop: Header=BB2_17 Depth=1
	v_cvt_f32_u32_e32 v6, s14
	v_cvt_f32_u32_e32 v7, s15
	s_sub_u32 s0, 0, s14
	s_subb_u32 s1, 0, s15
	v_madmk_f32 v6, v7, 0x4f800000, v6
	v_rcp_f32_e32 v6, v6
	v_mul_f32_e32 v6, 0x5f7ffffc, v6
	v_mul_f32_e32 v7, 0x2f800000, v6
	v_trunc_f32_e32 v7, v7
	v_madmk_f32 v6, v7, 0xcf800000, v6
	v_cvt_u32_f32_e32 v7, v7
	v_cvt_u32_f32_e32 v6, v6
	v_mul_lo_u32 v10, s0, v7
	v_mul_hi_u32 v12, s0, v6
	v_mul_lo_u32 v11, s1, v6
	v_add_u32_e32 v10, v12, v10
	v_mul_lo_u32 v13, s0, v6
	v_add_u32_e32 v10, v10, v11
	v_mul_hi_u32 v12, v6, v13
	v_mul_lo_u32 v14, v6, v10
	v_mul_hi_u32 v11, v6, v10
	v_add_co_u32_e32 v12, vcc, v12, v14
	v_addc_co_u32_e32 v11, vcc, 0, v11, vcc
	v_mul_hi_u32 v15, v7, v13
	v_mul_lo_u32 v13, v7, v13
	v_add_co_u32_e32 v12, vcc, v12, v13
	v_mul_hi_u32 v14, v7, v10
	v_addc_co_u32_e32 v11, vcc, v11, v15, vcc
	v_addc_co_u32_e32 v12, vcc, 0, v14, vcc
	v_mul_lo_u32 v10, v7, v10
	v_add_co_u32_e32 v10, vcc, v11, v10
	v_addc_co_u32_e32 v11, vcc, 0, v12, vcc
	v_add_co_u32_e32 v6, vcc, v6, v10
	v_addc_co_u32_e32 v7, vcc, v7, v11, vcc
	v_mul_lo_u32 v10, s0, v7
	v_mul_hi_u32 v11, s0, v6
	v_add_u32_e32 v10, v11, v10
	v_mul_lo_u32 v11, s1, v6
	v_add_u32_e32 v10, v10, v11
	v_mul_lo_u32 v12, s0, v6
	v_mul_hi_u32 v13, v7, v12
	v_mul_lo_u32 v14, v7, v12
	v_mul_lo_u32 v16, v6, v10
	v_mul_hi_u32 v12, v6, v12
	v_mul_hi_u32 v15, v6, v10
	v_add_co_u32_e32 v12, vcc, v12, v16
	v_addc_co_u32_e32 v15, vcc, 0, v15, vcc
	v_add_co_u32_e32 v12, vcc, v12, v14
	v_mul_hi_u32 v11, v7, v10
	v_addc_co_u32_e32 v12, vcc, v15, v13, vcc
	v_addc_co_u32_e32 v11, vcc, 0, v11, vcc
	v_mul_lo_u32 v10, v7, v10
	v_add_co_u32_e32 v10, vcc, v12, v10
	v_addc_co_u32_e32 v11, vcc, 0, v11, vcc
	v_add_co_u32_e32 v10, vcc, v6, v10
	v_addc_co_u32_e32 v11, vcc, v7, v11, vcc
	v_mad_u64_u32 v[6:7], s[0:1], v8, v11, 0
	v_mul_hi_u32 v12, v8, v10
	v_add_co_u32_e32 v12, vcc, v12, v6
	v_addc_co_u32_e32 v13, vcc, 0, v7, vcc
	v_mad_u64_u32 v[6:7], s[0:1], v9, v11, 0
	v_mad_u64_u32 v[10:11], s[0:1], v9, v10, 0
	v_add_co_u32_e32 v10, vcc, v12, v10
	v_addc_co_u32_e32 v10, vcc, v13, v11, vcc
	v_addc_co_u32_e32 v7, vcc, 0, v7, vcc
	v_add_co_u32_e32 v10, vcc, v10, v6
	v_addc_co_u32_e32 v11, vcc, 0, v7, vcc
	v_mul_lo_u32 v12, s15, v10
	v_mul_lo_u32 v13, s14, v11
	v_mad_u64_u32 v[6:7], s[0:1], s14, v10, 0
	v_add3_u32 v7, v7, v13, v12
	v_sub_u32_e32 v12, v9, v7
	v_mov_b32_e32 v13, s15
	v_sub_co_u32_e32 v6, vcc, v8, v6
	v_subb_co_u32_e64 v12, s[0:1], v12, v13, vcc
	v_subrev_co_u32_e64 v13, s[0:1], s14, v6
	v_subbrev_co_u32_e64 v12, s[0:1], 0, v12, s[0:1]
	v_cmp_le_u32_e64 s[0:1], s15, v12
	v_cndmask_b32_e64 v14, 0, -1, s[0:1]
	v_cmp_le_u32_e64 s[0:1], s14, v13
	v_cndmask_b32_e64 v13, 0, -1, s[0:1]
	v_cmp_eq_u32_e64 s[0:1], s15, v12
	v_cndmask_b32_e64 v12, v14, v13, s[0:1]
	v_add_co_u32_e64 v13, s[0:1], 2, v10
	v_addc_co_u32_e64 v14, s[0:1], 0, v11, s[0:1]
	v_add_co_u32_e64 v15, s[0:1], 1, v10
	v_addc_co_u32_e64 v16, s[0:1], 0, v11, s[0:1]
	v_subb_co_u32_e32 v7, vcc, v9, v7, vcc
	v_cmp_ne_u32_e64 s[0:1], 0, v12
	v_cmp_le_u32_e32 vcc, s15, v7
	v_cndmask_b32_e64 v12, v16, v14, s[0:1]
	v_cndmask_b32_e64 v14, 0, -1, vcc
	v_cmp_le_u32_e32 vcc, s14, v6
	v_cndmask_b32_e64 v6, 0, -1, vcc
	v_cmp_eq_u32_e32 vcc, s15, v7
	v_cndmask_b32_e32 v6, v14, v6, vcc
	v_cmp_ne_u32_e32 vcc, 0, v6
	v_cndmask_b32_e64 v6, v15, v13, s[0:1]
	v_cndmask_b32_e32 v7, v11, v12, vcc
	v_cndmask_b32_e32 v6, v10, v6, vcc
.LBB2_27:                               ;   in Loop: Header=BB2_17 Depth=1
	s_andn2_saveexec_b64 s[0:1], s[8:9]
	s_cbranch_execz .LBB2_29
; %bb.28:                               ;   in Loop: Header=BB2_17 Depth=1
	v_cvt_f32_u32_e32 v6, s14
	s_sub_i32 s8, 0, s14
	v_rcp_iflag_f32_e32 v6, v6
	v_mul_f32_e32 v6, 0x4f7ffffe, v6
	v_cvt_u32_f32_e32 v6, v6
	v_mul_lo_u32 v7, s8, v6
	v_mul_hi_u32 v7, v6, v7
	v_add_u32_e32 v6, v6, v7
	v_mul_hi_u32 v6, v8, v6
	v_mul_lo_u32 v7, v6, s14
	v_sub_u32_e32 v7, v8, v7
	v_add_u32_e32 v10, 1, v6
	v_subrev_u32_e32 v11, s14, v7
	v_cmp_le_u32_e32 vcc, s14, v7
	v_cndmask_b32_e32 v7, v7, v11, vcc
	v_cndmask_b32_e32 v6, v6, v10, vcc
	v_add_u32_e32 v10, 1, v6
	v_cmp_le_u32_e32 vcc, s14, v7
	v_cndmask_b32_e32 v6, v6, v10, vcc
	v_mov_b32_e32 v7, 0
.LBB2_29:                               ;   in Loop: Header=BB2_17 Depth=1
	s_or_b64 exec, exec, s[0:1]
	v_mul_lo_u32 v12, v7, s14
	v_mul_lo_u32 v13, v6, s15
	v_mad_u64_u32 v[10:11], s[0:1], v6, s14, 0
	v_add3_u32 v11, v11, v13, v12
	v_sub_co_u32_e32 v10, vcc, v8, v10
	v_subb_co_u32_e32 v11, vcc, v9, v11, vcc
	v_or_b32_e32 v9, s3, v11
	v_mov_b32_e32 v8, 0
	v_cmp_ne_u64_e32 vcc, 0, v[8:9]
                                        ; implicit-def: $vgpr8_vgpr9
	s_and_saveexec_b64 s[0:1], vcc
	s_xor_b64 s[8:9], exec, s[0:1]
	s_cbranch_execz .LBB2_31
; %bb.30:                               ;   in Loop: Header=BB2_17 Depth=1
	v_cvt_f32_u32_e32 v8, s2
	v_cvt_f32_u32_e32 v9, s3
	s_sub_u32 s0, 0, s2
	s_subb_u32 s1, 0, s3
	v_madmk_f32 v8, v9, 0x4f800000, v8
	v_rcp_f32_e32 v8, v8
	v_mul_f32_e32 v8, 0x5f7ffffc, v8
	v_mul_f32_e32 v9, 0x2f800000, v8
	v_trunc_f32_e32 v9, v9
	v_madmk_f32 v8, v9, 0xcf800000, v8
	v_cvt_u32_f32_e32 v9, v9
	v_cvt_u32_f32_e32 v8, v8
	v_mul_lo_u32 v12, s0, v9
	v_mul_hi_u32 v14, s0, v8
	v_mul_lo_u32 v13, s1, v8
	v_add_u32_e32 v12, v14, v12
	v_mul_lo_u32 v15, s0, v8
	v_add_u32_e32 v12, v12, v13
	v_mul_hi_u32 v14, v8, v15
	v_mul_lo_u32 v16, v8, v12
	v_mul_hi_u32 v13, v8, v12
	v_add_co_u32_e32 v14, vcc, v14, v16
	v_addc_co_u32_e32 v13, vcc, 0, v13, vcc
	v_mul_hi_u32 v17, v9, v15
	v_mul_lo_u32 v15, v9, v15
	v_add_co_u32_e32 v14, vcc, v14, v15
	v_mul_hi_u32 v16, v9, v12
	v_addc_co_u32_e32 v13, vcc, v13, v17, vcc
	v_addc_co_u32_e32 v14, vcc, 0, v16, vcc
	v_mul_lo_u32 v12, v9, v12
	v_add_co_u32_e32 v12, vcc, v13, v12
	v_addc_co_u32_e32 v13, vcc, 0, v14, vcc
	v_add_co_u32_e32 v8, vcc, v8, v12
	v_addc_co_u32_e32 v9, vcc, v9, v13, vcc
	v_mul_lo_u32 v12, s0, v9
	v_mul_hi_u32 v13, s0, v8
	v_add_u32_e32 v12, v13, v12
	v_mul_lo_u32 v13, s1, v8
	v_add_u32_e32 v12, v12, v13
	v_mul_lo_u32 v14, s0, v8
	v_mul_hi_u32 v15, v9, v14
	v_mul_lo_u32 v16, v9, v14
	v_mul_lo_u32 v18, v8, v12
	v_mul_hi_u32 v14, v8, v14
	v_mul_hi_u32 v17, v8, v12
	v_add_co_u32_e32 v14, vcc, v14, v18
	v_addc_co_u32_e32 v17, vcc, 0, v17, vcc
	v_add_co_u32_e32 v14, vcc, v14, v16
	v_mul_hi_u32 v13, v9, v12
	v_addc_co_u32_e32 v14, vcc, v17, v15, vcc
	v_addc_co_u32_e32 v13, vcc, 0, v13, vcc
	v_mul_lo_u32 v12, v9, v12
	v_add_co_u32_e32 v12, vcc, v14, v12
	v_addc_co_u32_e32 v13, vcc, 0, v13, vcc
	v_add_co_u32_e32 v12, vcc, v8, v12
	v_addc_co_u32_e32 v13, vcc, v9, v13, vcc
	v_mad_u64_u32 v[8:9], s[0:1], v10, v13, 0
	v_mul_hi_u32 v14, v10, v12
	v_add_co_u32_e32 v14, vcc, v14, v8
	v_addc_co_u32_e32 v15, vcc, 0, v9, vcc
	v_mad_u64_u32 v[8:9], s[0:1], v11, v13, 0
	v_mad_u64_u32 v[12:13], s[0:1], v11, v12, 0
	v_add_co_u32_e32 v12, vcc, v14, v12
	v_addc_co_u32_e32 v12, vcc, v15, v13, vcc
	v_addc_co_u32_e32 v9, vcc, 0, v9, vcc
	v_add_co_u32_e32 v12, vcc, v12, v8
	v_addc_co_u32_e32 v13, vcc, 0, v9, vcc
	v_mul_lo_u32 v14, s3, v12
	v_mul_lo_u32 v15, s2, v13
	v_mad_u64_u32 v[8:9], s[0:1], s2, v12, 0
	v_add3_u32 v9, v9, v15, v14
	v_sub_u32_e32 v14, v11, v9
	v_mov_b32_e32 v15, s3
	v_sub_co_u32_e32 v8, vcc, v10, v8
	v_subb_co_u32_e64 v14, s[0:1], v14, v15, vcc
	v_subrev_co_u32_e64 v15, s[0:1], s2, v8
	v_subbrev_co_u32_e64 v14, s[0:1], 0, v14, s[0:1]
	v_cmp_le_u32_e64 s[0:1], s3, v14
	v_cndmask_b32_e64 v16, 0, -1, s[0:1]
	v_cmp_le_u32_e64 s[0:1], s2, v15
	v_cndmask_b32_e64 v15, 0, -1, s[0:1]
	v_cmp_eq_u32_e64 s[0:1], s3, v14
	v_cndmask_b32_e64 v14, v16, v15, s[0:1]
	v_add_co_u32_e64 v15, s[0:1], 2, v12
	v_addc_co_u32_e64 v16, s[0:1], 0, v13, s[0:1]
	v_add_co_u32_e64 v17, s[0:1], 1, v12
	v_addc_co_u32_e64 v18, s[0:1], 0, v13, s[0:1]
	v_subb_co_u32_e32 v9, vcc, v11, v9, vcc
	v_cmp_ne_u32_e64 s[0:1], 0, v14
	v_cmp_le_u32_e32 vcc, s3, v9
	v_cndmask_b32_e64 v14, v18, v16, s[0:1]
	v_cndmask_b32_e64 v16, 0, -1, vcc
	v_cmp_le_u32_e32 vcc, s2, v8
	v_cndmask_b32_e64 v8, 0, -1, vcc
	v_cmp_eq_u32_e32 vcc, s3, v9
	v_cndmask_b32_e32 v8, v16, v8, vcc
	v_cmp_ne_u32_e32 vcc, 0, v8
	v_cndmask_b32_e64 v8, v17, v15, s[0:1]
	v_cndmask_b32_e32 v9, v13, v14, vcc
	v_cndmask_b32_e32 v8, v12, v8, vcc
.LBB2_31:                               ;   in Loop: Header=BB2_17 Depth=1
	s_andn2_saveexec_b64 s[0:1], s[8:9]
	s_cbranch_execz .LBB2_16
; %bb.32:                               ;   in Loop: Header=BB2_17 Depth=1
	v_mov_b32_e32 v8, s16
	v_alignbit_b32 v8, s17, v8, 2
	v_cvt_f32_u32_e32 v9, v8
	v_sub_u32_e32 v12, 0, v8
	v_rcp_iflag_f32_e32 v9, v9
	v_mul_f32_e32 v9, 0x4f7ffffe, v9
	v_cvt_u32_f32_e32 v9, v9
	v_mul_lo_u32 v12, v12, v9
	v_mul_hi_u32 v12, v9, v12
	v_add_u32_e32 v9, v9, v12
	v_mul_hi_u32 v9, v10, v9
	v_mul_lo_u32 v12, v9, v8
	v_sub_u32_e32 v12, v10, v12
	v_add_u32_e32 v13, 1, v9
	v_sub_u32_e32 v14, v12, v8
	v_cmp_ge_u32_e32 vcc, v12, v8
	v_cndmask_b32_e32 v12, v12, v14, vcc
	v_cndmask_b32_e32 v9, v9, v13, vcc
	v_add_u32_e32 v13, 1, v9
	v_cmp_ge_u32_e32 vcc, v12, v8
	v_cndmask_b32_e32 v8, v9, v13, vcc
	v_mov_b32_e32 v9, 0
	s_branch .LBB2_16
.LBB2_33:                               ;   in Loop: Header=BB2_34 Depth=1
	s_or_b64 exec, exec, s[0:1]
	v_mul_lo_u32 v16, v11, s2
	v_mul_lo_u32 v17, v10, s3
	v_mad_u64_u32 v[14:15], s[0:1], v10, s2, 0
	v_add3_u32 v15, v15, v17, v16
	v_sub_co_u32_e32 v16, vcc, v12, v14
	v_subb_co_u32_e32 v17, vcc, v13, v15, vcc
	v_mul_lo_u32 v14, v5, s18
	v_mul_lo_u32 v15, v4, s19
	v_mad_u64_u32 v[12:13], s[0:1], v4, s18, 0
	v_add3_u32 v13, v13, v15, v14
	v_mul_lo_u32 v18, v7, s20
	v_mul_lo_u32 v19, v6, s21
	v_mad_u64_u32 v[14:15], s[0:1], v6, s20, 0
	v_add3_u32 v15, v15, v19, v18
	;; [unrolled: 4-line block ×3, first 2 shown]
	v_mul_lo_u32 v22, v11, s24
	v_mul_lo_u32 v23, v10, s25
	v_mad_u64_u32 v[20:21], s[0:1], v10, s24, 0
	v_lshlrev_b64 v[12:13], 2, v[12:13]
	v_add3_u32 v21, v21, v23, v22
	v_mov_b32_e32 v22, s37
	v_add_co_u32_e32 v23, vcc, s36, v12
	v_addc_co_u32_e32 v22, vcc, v22, v13, vcc
	v_lshlrev_b64 v[12:13], 2, v[14:15]
	v_add_co_u32_e32 v14, vcc, v23, v12
	v_addc_co_u32_e32 v15, vcc, v22, v13, vcc
	v_lshlrev_b64 v[12:13], 2, v[18:19]
	;; [unrolled: 3-line block ×4, first 2 shown]
	v_add_co_u32_e32 v12, vcc, v14, v12
	v_addc_co_u32_e32 v13, vcc, v15, v13, vcc
	global_load_dwordx4 v[12:15], v[12:13], off
	v_lshlrev_b64 v[18:19], 2, v[16:17]
	v_mul_lo_u32 v19, v5, s28
	v_mul_lo_u32 v20, v4, s29
	v_mad_u64_u32 v[4:5], s[0:1], v4, s28, 0
	v_add3_u32 v5, v5, v20, v19
	v_mul_lo_u32 v19, v7, s30
	v_mul_lo_u32 v20, v6, s31
	v_mad_u64_u32 v[6:7], s[0:1], v6, s30, 0
	v_add3_u32 v7, v7, v20, v19
	;; [unrolled: 4-line block ×3, first 2 shown]
	v_mul_lo_u32 v19, v11, s42
	v_mul_lo_u32 v20, v10, s43
	v_mad_u64_u32 v[10:11], s[0:1], v10, s42, 0
	v_lshlrev_b64 v[4:5], 2, v[4:5]
	v_add3_u32 v11, v11, v20, v19
	v_mov_b32_e32 v19, s39
	v_add_co_u32_e32 v20, vcc, s38, v4
	v_addc_co_u32_e32 v19, vcc, v19, v5, vcc
	v_lshlrev_b64 v[4:5], 2, v[6:7]
	v_add_co_u32_e32 v6, vcc, v20, v4
	v_addc_co_u32_e32 v7, vcc, v19, v5, vcc
	v_lshlrev_b64 v[4:5], 2, v[8:9]
	;; [unrolled: 3-line block ×3, first 2 shown]
	v_add_co_u32_e32 v6, vcc, v6, v4
	v_alignbit_b32 v4, v17, v16, 30
	v_addc_co_u32_e32 v7, vcc, v7, v5, vcc
	v_mul_lo_u32 v8, v4, s4
	v_mul_lo_u32 v9, v18, s5
	v_mad_u64_u32 v[4:5], s[0:1], v18, s4, 0
	v_add3_u32 v5, v5, v9, v8
	v_lshlrev_b64 v[4:5], 2, v[4:5]
	v_add_co_u32_e32 v4, vcc, v6, v4
	v_addc_co_u32_e32 v5, vcc, v7, v5, vcc
	s_lshl_b64 s[0:1], s[4:5], 2
	v_mov_b32_e32 v6, s1
	s_waitcnt vmcnt(0)
	global_store_dword v[4:5], v12, off
	v_add_co_u32_e32 v4, vcc, s0, v4
	v_addc_co_u32_e32 v5, vcc, v5, v6, vcc
	global_store_dword v[4:5], v13, off
	v_add_co_u32_e32 v4, vcc, s0, v4
	v_addc_co_u32_e32 v5, vcc, v5, v6, vcc
	;; [unrolled: 3-line block ×3, first 2 shown]
	v_mov_b32_e32 v6, s33
	v_add_co_u32_e32 v2, vcc, s48, v2
	v_addc_co_u32_e32 v3, vcc, v3, v6, vcc
	v_cmp_le_u64_e32 vcc, s[6:7], v[2:3]
	s_or_b64 s[26:27], vcc, s[26:27]
	global_store_dword v[4:5], v15, off
	s_andn2_b64 exec, exec, s[26:27]
	s_cbranch_execz .LBB2_11
.LBB2_34:                               ; =>This Inner Loop Header: Depth=1
	v_or_b32_e32 v5, s51, v3
	v_mov_b32_e32 v4, 0
	v_cmp_ne_u64_e32 vcc, 0, v[4:5]
                                        ; implicit-def: $vgpr4_vgpr5
	s_and_saveexec_b64 s[0:1], vcc
	s_xor_b64 s[44:45], exec, s[0:1]
	s_cbranch_execz .LBB2_36
; %bb.35:                               ;   in Loop: Header=BB2_34 Depth=1
	v_cvt_f32_u32_e32 v4, s52
	v_cvt_f32_u32_e32 v5, s51
	s_sub_u32 s0, 0, s52
	s_subb_u32 s1, 0, s51
	v_madmk_f32 v4, v5, 0x4f800000, v4
	v_rcp_f32_e32 v4, v4
	v_mul_f32_e32 v4, 0x5f7ffffc, v4
	v_mul_f32_e32 v5, 0x2f800000, v4
	v_trunc_f32_e32 v5, v5
	v_madmk_f32 v4, v5, 0xcf800000, v4
	v_cvt_u32_f32_e32 v5, v5
	v_cvt_u32_f32_e32 v4, v4
	v_mul_lo_u32 v6, s0, v5
	v_mul_hi_u32 v8, s0, v4
	v_mul_lo_u32 v7, s1, v4
	v_add_u32_e32 v6, v8, v6
	v_mul_lo_u32 v9, s0, v4
	v_add_u32_e32 v6, v6, v7
	v_mul_hi_u32 v8, v4, v9
	v_mul_lo_u32 v10, v4, v6
	v_mul_hi_u32 v7, v4, v6
	v_add_co_u32_e32 v8, vcc, v8, v10
	v_addc_co_u32_e32 v7, vcc, 0, v7, vcc
	v_mul_hi_u32 v11, v5, v9
	v_mul_lo_u32 v9, v5, v9
	v_add_co_u32_e32 v8, vcc, v8, v9
	v_mul_hi_u32 v10, v5, v6
	v_addc_co_u32_e32 v7, vcc, v7, v11, vcc
	v_addc_co_u32_e32 v8, vcc, 0, v10, vcc
	v_mul_lo_u32 v6, v5, v6
	v_add_co_u32_e32 v6, vcc, v7, v6
	v_addc_co_u32_e32 v7, vcc, 0, v8, vcc
	v_add_co_u32_e32 v4, vcc, v4, v6
	v_addc_co_u32_e32 v5, vcc, v5, v7, vcc
	v_mul_lo_u32 v6, s0, v5
	v_mul_hi_u32 v7, s0, v4
	v_add_u32_e32 v6, v7, v6
	v_mul_lo_u32 v7, s1, v4
	v_add_u32_e32 v6, v6, v7
	v_mul_lo_u32 v8, s0, v4
	v_mul_hi_u32 v9, v5, v8
	v_mul_lo_u32 v10, v5, v8
	v_mul_lo_u32 v12, v4, v6
	v_mul_hi_u32 v8, v4, v8
	v_mul_hi_u32 v11, v4, v6
	v_add_co_u32_e32 v8, vcc, v8, v12
	v_addc_co_u32_e32 v11, vcc, 0, v11, vcc
	v_add_co_u32_e32 v8, vcc, v8, v10
	v_mul_hi_u32 v7, v5, v6
	v_addc_co_u32_e32 v8, vcc, v11, v9, vcc
	v_addc_co_u32_e32 v7, vcc, 0, v7, vcc
	v_mul_lo_u32 v6, v5, v6
	v_add_co_u32_e32 v6, vcc, v8, v6
	v_addc_co_u32_e32 v7, vcc, 0, v7, vcc
	v_add_co_u32_e32 v6, vcc, v4, v6
	v_addc_co_u32_e32 v7, vcc, v5, v7, vcc
	v_mad_u64_u32 v[4:5], s[0:1], v2, v7, 0
	v_mul_hi_u32 v8, v2, v6
	v_add_co_u32_e32 v8, vcc, v8, v4
	v_addc_co_u32_e32 v9, vcc, 0, v5, vcc
	v_mad_u64_u32 v[4:5], s[0:1], v3, v7, 0
	v_mad_u64_u32 v[6:7], s[0:1], v3, v6, 0
	v_add_co_u32_e32 v6, vcc, v8, v6
	v_addc_co_u32_e32 v6, vcc, v9, v7, vcc
	v_addc_co_u32_e32 v5, vcc, 0, v5, vcc
	v_add_co_u32_e32 v6, vcc, v6, v4
	v_addc_co_u32_e32 v7, vcc, 0, v5, vcc
	v_mul_lo_u32 v8, s51, v6
	v_mul_lo_u32 v9, s52, v7
	v_mad_u64_u32 v[4:5], s[0:1], s52, v6, 0
	v_add3_u32 v5, v5, v9, v8
	v_sub_u32_e32 v8, v3, v5
	v_mov_b32_e32 v9, s51
	v_sub_co_u32_e32 v4, vcc, v2, v4
	v_subb_co_u32_e64 v8, s[0:1], v8, v9, vcc
	v_subrev_co_u32_e64 v9, s[0:1], s52, v4
	v_subbrev_co_u32_e64 v8, s[0:1], 0, v8, s[0:1]
	v_cmp_le_u32_e64 s[0:1], s51, v8
	v_cndmask_b32_e64 v10, 0, -1, s[0:1]
	v_cmp_le_u32_e64 s[0:1], s52, v9
	v_cndmask_b32_e64 v9, 0, -1, s[0:1]
	v_cmp_eq_u32_e64 s[0:1], s51, v8
	v_cndmask_b32_e64 v8, v10, v9, s[0:1]
	v_add_co_u32_e64 v9, s[0:1], 2, v6
	v_addc_co_u32_e64 v10, s[0:1], 0, v7, s[0:1]
	v_add_co_u32_e64 v11, s[0:1], 1, v6
	v_addc_co_u32_e64 v12, s[0:1], 0, v7, s[0:1]
	v_subb_co_u32_e32 v5, vcc, v3, v5, vcc
	v_cmp_ne_u32_e64 s[0:1], 0, v8
	v_cmp_le_u32_e32 vcc, s51, v5
	v_cndmask_b32_e64 v8, v12, v10, s[0:1]
	v_cndmask_b32_e64 v10, 0, -1, vcc
	v_cmp_le_u32_e32 vcc, s52, v4
	v_cndmask_b32_e64 v4, 0, -1, vcc
	v_cmp_eq_u32_e32 vcc, s51, v5
	v_cndmask_b32_e32 v4, v10, v4, vcc
	v_cmp_ne_u32_e32 vcc, 0, v4
	v_cndmask_b32_e64 v4, v11, v9, s[0:1]
	v_cndmask_b32_e32 v5, v7, v8, vcc
	v_cndmask_b32_e32 v4, v6, v4, vcc
.LBB2_36:                               ;   in Loop: Header=BB2_34 Depth=1
	s_andn2_saveexec_b64 s[0:1], s[44:45]
	s_cbranch_execz .LBB2_38
; %bb.37:                               ;   in Loop: Header=BB2_34 Depth=1
	v_cvt_f32_u32_e32 v4, s52
	s_sub_i32 s44, 0, s52
	v_rcp_iflag_f32_e32 v4, v4
	v_mul_f32_e32 v4, 0x4f7ffffe, v4
	v_cvt_u32_f32_e32 v4, v4
	v_mul_lo_u32 v5, s44, v4
	v_mul_hi_u32 v5, v4, v5
	v_add_u32_e32 v4, v4, v5
	v_mul_hi_u32 v4, v2, v4
	v_mul_lo_u32 v5, v4, s52
	v_sub_u32_e32 v5, v2, v5
	v_add_u32_e32 v6, 1, v4
	v_subrev_u32_e32 v7, s52, v5
	v_cmp_le_u32_e32 vcc, s52, v5
	v_cndmask_b32_e32 v5, v5, v7, vcc
	v_cndmask_b32_e32 v4, v4, v6, vcc
	v_add_u32_e32 v6, 1, v4
	v_cmp_le_u32_e32 vcc, s52, v5
	v_cndmask_b32_e32 v4, v4, v6, vcc
	v_mov_b32_e32 v5, 0
.LBB2_38:                               ;   in Loop: Header=BB2_34 Depth=1
	s_or_b64 exec, exec, s[0:1]
	v_mul_lo_u32 v8, v5, s52
	v_mul_lo_u32 v9, v4, s51
	v_mad_u64_u32 v[6:7], s[0:1], v4, s52, 0
	v_add3_u32 v7, v7, v9, v8
	v_sub_co_u32_e32 v8, vcc, v2, v6
	v_subb_co_u32_e32 v9, vcc, v3, v7, vcc
	v_or_b32_e32 v7, s49, v9
	v_mov_b32_e32 v6, 0
	v_cmp_ne_u64_e32 vcc, 0, v[6:7]
                                        ; implicit-def: $vgpr6_vgpr7
	s_and_saveexec_b64 s[0:1], vcc
	s_xor_b64 s[44:45], exec, s[0:1]
	s_cbranch_execz .LBB2_40
; %bb.39:                               ;   in Loop: Header=BB2_34 Depth=1
	v_cvt_f32_u32_e32 v6, s50
	v_cvt_f32_u32_e32 v7, s49
	s_sub_u32 s0, 0, s50
	s_subb_u32 s1, 0, s49
	v_madmk_f32 v6, v7, 0x4f800000, v6
	v_rcp_f32_e32 v6, v6
	v_mul_f32_e32 v6, 0x5f7ffffc, v6
	v_mul_f32_e32 v7, 0x2f800000, v6
	v_trunc_f32_e32 v7, v7
	v_madmk_f32 v6, v7, 0xcf800000, v6
	v_cvt_u32_f32_e32 v7, v7
	v_cvt_u32_f32_e32 v6, v6
	v_mul_lo_u32 v10, s0, v7
	v_mul_hi_u32 v12, s0, v6
	v_mul_lo_u32 v11, s1, v6
	v_add_u32_e32 v10, v12, v10
	v_mul_lo_u32 v13, s0, v6
	v_add_u32_e32 v10, v10, v11
	v_mul_hi_u32 v12, v6, v13
	v_mul_lo_u32 v14, v6, v10
	v_mul_hi_u32 v11, v6, v10
	v_add_co_u32_e32 v12, vcc, v12, v14
	v_addc_co_u32_e32 v11, vcc, 0, v11, vcc
	v_mul_hi_u32 v15, v7, v13
	v_mul_lo_u32 v13, v7, v13
	v_add_co_u32_e32 v12, vcc, v12, v13
	v_mul_hi_u32 v14, v7, v10
	v_addc_co_u32_e32 v11, vcc, v11, v15, vcc
	v_addc_co_u32_e32 v12, vcc, 0, v14, vcc
	v_mul_lo_u32 v10, v7, v10
	v_add_co_u32_e32 v10, vcc, v11, v10
	v_addc_co_u32_e32 v11, vcc, 0, v12, vcc
	v_add_co_u32_e32 v6, vcc, v6, v10
	v_addc_co_u32_e32 v7, vcc, v7, v11, vcc
	v_mul_lo_u32 v10, s0, v7
	v_mul_hi_u32 v11, s0, v6
	v_add_u32_e32 v10, v11, v10
	v_mul_lo_u32 v11, s1, v6
	v_add_u32_e32 v10, v10, v11
	v_mul_lo_u32 v12, s0, v6
	v_mul_hi_u32 v13, v7, v12
	v_mul_lo_u32 v14, v7, v12
	v_mul_lo_u32 v16, v6, v10
	v_mul_hi_u32 v12, v6, v12
	v_mul_hi_u32 v15, v6, v10
	v_add_co_u32_e32 v12, vcc, v12, v16
	v_addc_co_u32_e32 v15, vcc, 0, v15, vcc
	v_add_co_u32_e32 v12, vcc, v12, v14
	v_mul_hi_u32 v11, v7, v10
	v_addc_co_u32_e32 v12, vcc, v15, v13, vcc
	v_addc_co_u32_e32 v11, vcc, 0, v11, vcc
	v_mul_lo_u32 v10, v7, v10
	v_add_co_u32_e32 v10, vcc, v12, v10
	v_addc_co_u32_e32 v11, vcc, 0, v11, vcc
	v_add_co_u32_e32 v10, vcc, v6, v10
	v_addc_co_u32_e32 v11, vcc, v7, v11, vcc
	v_mad_u64_u32 v[6:7], s[0:1], v8, v11, 0
	v_mul_hi_u32 v12, v8, v10
	v_add_co_u32_e32 v12, vcc, v12, v6
	v_addc_co_u32_e32 v13, vcc, 0, v7, vcc
	v_mad_u64_u32 v[6:7], s[0:1], v9, v11, 0
	v_mad_u64_u32 v[10:11], s[0:1], v9, v10, 0
	v_add_co_u32_e32 v10, vcc, v12, v10
	v_addc_co_u32_e32 v10, vcc, v13, v11, vcc
	v_addc_co_u32_e32 v7, vcc, 0, v7, vcc
	v_add_co_u32_e32 v10, vcc, v10, v6
	v_addc_co_u32_e32 v11, vcc, 0, v7, vcc
	v_mul_lo_u32 v12, s49, v10
	v_mul_lo_u32 v13, s50, v11
	v_mad_u64_u32 v[6:7], s[0:1], s50, v10, 0
	v_add3_u32 v7, v7, v13, v12
	v_sub_u32_e32 v12, v9, v7
	v_mov_b32_e32 v13, s49
	v_sub_co_u32_e32 v6, vcc, v8, v6
	v_subb_co_u32_e64 v12, s[0:1], v12, v13, vcc
	v_subrev_co_u32_e64 v13, s[0:1], s50, v6
	v_subbrev_co_u32_e64 v12, s[0:1], 0, v12, s[0:1]
	v_cmp_le_u32_e64 s[0:1], s49, v12
	v_cndmask_b32_e64 v14, 0, -1, s[0:1]
	v_cmp_le_u32_e64 s[0:1], s50, v13
	v_cndmask_b32_e64 v13, 0, -1, s[0:1]
	v_cmp_eq_u32_e64 s[0:1], s49, v12
	v_cndmask_b32_e64 v12, v14, v13, s[0:1]
	v_add_co_u32_e64 v13, s[0:1], 2, v10
	v_addc_co_u32_e64 v14, s[0:1], 0, v11, s[0:1]
	v_add_co_u32_e64 v15, s[0:1], 1, v10
	v_addc_co_u32_e64 v16, s[0:1], 0, v11, s[0:1]
	v_subb_co_u32_e32 v7, vcc, v9, v7, vcc
	v_cmp_ne_u32_e64 s[0:1], 0, v12
	v_cmp_le_u32_e32 vcc, s49, v7
	v_cndmask_b32_e64 v12, v16, v14, s[0:1]
	v_cndmask_b32_e64 v14, 0, -1, vcc
	v_cmp_le_u32_e32 vcc, s50, v6
	v_cndmask_b32_e64 v6, 0, -1, vcc
	v_cmp_eq_u32_e32 vcc, s49, v7
	v_cndmask_b32_e32 v6, v14, v6, vcc
	v_cmp_ne_u32_e32 vcc, 0, v6
	v_cndmask_b32_e64 v6, v15, v13, s[0:1]
	v_cndmask_b32_e32 v7, v11, v12, vcc
	v_cndmask_b32_e32 v6, v10, v6, vcc
.LBB2_40:                               ;   in Loop: Header=BB2_34 Depth=1
	s_andn2_saveexec_b64 s[0:1], s[44:45]
	s_cbranch_execz .LBB2_42
; %bb.41:                               ;   in Loop: Header=BB2_34 Depth=1
	v_cvt_f32_u32_e32 v6, s50
	s_sub_i32 s44, 0, s50
	v_rcp_iflag_f32_e32 v6, v6
	v_mul_f32_e32 v6, 0x4f7ffffe, v6
	v_cvt_u32_f32_e32 v6, v6
	v_mul_lo_u32 v7, s44, v6
	v_mul_hi_u32 v7, v6, v7
	v_add_u32_e32 v6, v6, v7
	v_mul_hi_u32 v6, v8, v6
	v_mul_lo_u32 v7, v6, s50
	v_sub_u32_e32 v7, v8, v7
	v_add_u32_e32 v10, 1, v6
	v_subrev_u32_e32 v11, s50, v7
	v_cmp_le_u32_e32 vcc, s50, v7
	v_cndmask_b32_e32 v7, v7, v11, vcc
	v_cndmask_b32_e32 v6, v6, v10, vcc
	v_add_u32_e32 v10, 1, v6
	v_cmp_le_u32_e32 vcc, s50, v7
	v_cndmask_b32_e32 v6, v6, v10, vcc
	v_mov_b32_e32 v7, 0
.LBB2_42:                               ;   in Loop: Header=BB2_34 Depth=1
	s_or_b64 exec, exec, s[0:1]
	v_mul_lo_u32 v12, v7, s50
	v_mul_lo_u32 v13, v6, s49
	v_mad_u64_u32 v[10:11], s[0:1], v6, s50, 0
	v_add3_u32 v11, v11, v13, v12
	v_sub_co_u32_e32 v10, vcc, v8, v10
	v_subb_co_u32_e32 v11, vcc, v9, v11, vcc
	v_or_b32_e32 v9, s46, v11
	v_mov_b32_e32 v8, 0
	v_cmp_ne_u64_e32 vcc, 0, v[8:9]
                                        ; implicit-def: $vgpr8_vgpr9
	s_and_saveexec_b64 s[0:1], vcc
	s_xor_b64 s[44:45], exec, s[0:1]
	s_cbranch_execz .LBB2_44
; %bb.43:                               ;   in Loop: Header=BB2_34 Depth=1
	v_cvt_f32_u32_e32 v8, s47
	v_cvt_f32_u32_e32 v9, s46
	s_sub_u32 s0, 0, s47
	s_subb_u32 s1, 0, s46
	v_madmk_f32 v8, v9, 0x4f800000, v8
	v_rcp_f32_e32 v8, v8
	v_mul_f32_e32 v8, 0x5f7ffffc, v8
	v_mul_f32_e32 v9, 0x2f800000, v8
	v_trunc_f32_e32 v9, v9
	v_madmk_f32 v8, v9, 0xcf800000, v8
	v_cvt_u32_f32_e32 v9, v9
	v_cvt_u32_f32_e32 v8, v8
	v_mul_lo_u32 v12, s0, v9
	v_mul_hi_u32 v14, s0, v8
	v_mul_lo_u32 v13, s1, v8
	v_add_u32_e32 v12, v14, v12
	v_mul_lo_u32 v15, s0, v8
	v_add_u32_e32 v12, v12, v13
	v_mul_hi_u32 v14, v8, v15
	v_mul_lo_u32 v16, v8, v12
	v_mul_hi_u32 v13, v8, v12
	v_add_co_u32_e32 v14, vcc, v14, v16
	v_addc_co_u32_e32 v13, vcc, 0, v13, vcc
	v_mul_hi_u32 v17, v9, v15
	v_mul_lo_u32 v15, v9, v15
	v_add_co_u32_e32 v14, vcc, v14, v15
	v_mul_hi_u32 v16, v9, v12
	v_addc_co_u32_e32 v13, vcc, v13, v17, vcc
	v_addc_co_u32_e32 v14, vcc, 0, v16, vcc
	v_mul_lo_u32 v12, v9, v12
	v_add_co_u32_e32 v12, vcc, v13, v12
	v_addc_co_u32_e32 v13, vcc, 0, v14, vcc
	v_add_co_u32_e32 v8, vcc, v8, v12
	v_addc_co_u32_e32 v9, vcc, v9, v13, vcc
	v_mul_lo_u32 v12, s0, v9
	v_mul_hi_u32 v13, s0, v8
	v_add_u32_e32 v12, v13, v12
	v_mul_lo_u32 v13, s1, v8
	v_add_u32_e32 v12, v12, v13
	v_mul_lo_u32 v14, s0, v8
	v_mul_hi_u32 v15, v9, v14
	v_mul_lo_u32 v16, v9, v14
	v_mul_lo_u32 v18, v8, v12
	v_mul_hi_u32 v14, v8, v14
	v_mul_hi_u32 v17, v8, v12
	v_add_co_u32_e32 v14, vcc, v14, v18
	v_addc_co_u32_e32 v17, vcc, 0, v17, vcc
	v_add_co_u32_e32 v14, vcc, v14, v16
	v_mul_hi_u32 v13, v9, v12
	v_addc_co_u32_e32 v14, vcc, v17, v15, vcc
	v_addc_co_u32_e32 v13, vcc, 0, v13, vcc
	v_mul_lo_u32 v12, v9, v12
	v_add_co_u32_e32 v12, vcc, v14, v12
	v_addc_co_u32_e32 v13, vcc, 0, v13, vcc
	v_add_co_u32_e32 v12, vcc, v8, v12
	v_addc_co_u32_e32 v13, vcc, v9, v13, vcc
	v_mad_u64_u32 v[8:9], s[0:1], v10, v13, 0
	v_mul_hi_u32 v14, v10, v12
	v_add_co_u32_e32 v14, vcc, v14, v8
	v_addc_co_u32_e32 v15, vcc, 0, v9, vcc
	v_mad_u64_u32 v[8:9], s[0:1], v11, v13, 0
	v_mad_u64_u32 v[12:13], s[0:1], v11, v12, 0
	v_add_co_u32_e32 v12, vcc, v14, v12
	v_addc_co_u32_e32 v12, vcc, v15, v13, vcc
	v_addc_co_u32_e32 v9, vcc, 0, v9, vcc
	v_add_co_u32_e32 v12, vcc, v12, v8
	v_addc_co_u32_e32 v13, vcc, 0, v9, vcc
	v_mul_lo_u32 v14, s46, v12
	v_mul_lo_u32 v15, s47, v13
	v_mad_u64_u32 v[8:9], s[0:1], s47, v12, 0
	v_add3_u32 v9, v9, v15, v14
	v_sub_u32_e32 v14, v11, v9
	v_mov_b32_e32 v15, s46
	v_sub_co_u32_e32 v8, vcc, v10, v8
	v_subb_co_u32_e64 v14, s[0:1], v14, v15, vcc
	v_subrev_co_u32_e64 v15, s[0:1], s47, v8
	v_subbrev_co_u32_e64 v14, s[0:1], 0, v14, s[0:1]
	v_cmp_le_u32_e64 s[0:1], s46, v14
	v_cndmask_b32_e64 v16, 0, -1, s[0:1]
	v_cmp_le_u32_e64 s[0:1], s47, v15
	v_cndmask_b32_e64 v15, 0, -1, s[0:1]
	v_cmp_eq_u32_e64 s[0:1], s46, v14
	v_cndmask_b32_e64 v14, v16, v15, s[0:1]
	v_add_co_u32_e64 v15, s[0:1], 2, v12
	v_addc_co_u32_e64 v16, s[0:1], 0, v13, s[0:1]
	v_add_co_u32_e64 v17, s[0:1], 1, v12
	v_addc_co_u32_e64 v18, s[0:1], 0, v13, s[0:1]
	v_subb_co_u32_e32 v9, vcc, v11, v9, vcc
	v_cmp_ne_u32_e64 s[0:1], 0, v14
	v_cmp_le_u32_e32 vcc, s46, v9
	v_cndmask_b32_e64 v14, v18, v16, s[0:1]
	v_cndmask_b32_e64 v16, 0, -1, vcc
	v_cmp_le_u32_e32 vcc, s47, v8
	v_cndmask_b32_e64 v8, 0, -1, vcc
	v_cmp_eq_u32_e32 vcc, s46, v9
	v_cndmask_b32_e32 v8, v16, v8, vcc
	v_cmp_ne_u32_e32 vcc, 0, v8
	v_cndmask_b32_e64 v8, v17, v15, s[0:1]
	v_cndmask_b32_e32 v9, v13, v14, vcc
	v_cndmask_b32_e32 v8, v12, v8, vcc
.LBB2_44:                               ;   in Loop: Header=BB2_34 Depth=1
	s_andn2_saveexec_b64 s[0:1], s[44:45]
	s_cbranch_execz .LBB2_46
; %bb.45:                               ;   in Loop: Header=BB2_34 Depth=1
	v_cvt_f32_u32_e32 v8, s47
	s_sub_i32 s44, 0, s47
	v_rcp_iflag_f32_e32 v8, v8
	v_mul_f32_e32 v8, 0x4f7ffffe, v8
	v_cvt_u32_f32_e32 v8, v8
	v_mul_lo_u32 v9, s44, v8
	v_mul_hi_u32 v9, v8, v9
	v_add_u32_e32 v8, v8, v9
	v_mul_hi_u32 v8, v10, v8
	v_mul_lo_u32 v9, v8, s47
	v_sub_u32_e32 v9, v10, v9
	v_add_u32_e32 v12, 1, v8
	v_subrev_u32_e32 v13, s47, v9
	v_cmp_le_u32_e32 vcc, s47, v9
	v_cndmask_b32_e32 v9, v9, v13, vcc
	v_cndmask_b32_e32 v8, v8, v12, vcc
	v_add_u32_e32 v12, 1, v8
	v_cmp_le_u32_e32 vcc, s47, v9
	v_cndmask_b32_e32 v8, v8, v12, vcc
	v_mov_b32_e32 v9, 0
.LBB2_46:                               ;   in Loop: Header=BB2_34 Depth=1
	s_or_b64 exec, exec, s[0:1]
	v_mul_lo_u32 v14, v9, s47
	v_mul_lo_u32 v15, v8, s46
	v_mad_u64_u32 v[12:13], s[0:1], v8, s47, 0
	v_add3_u32 v13, v13, v15, v14
	v_sub_co_u32_e32 v12, vcc, v10, v12
	v_subb_co_u32_e32 v13, vcc, v11, v13, vcc
	v_or_b32_e32 v11, s3, v13
	v_mov_b32_e32 v10, 0
	v_cmp_ne_u64_e32 vcc, 0, v[10:11]
                                        ; implicit-def: $vgpr10_vgpr11
	s_and_saveexec_b64 s[0:1], vcc
	s_xor_b64 s[44:45], exec, s[0:1]
	s_cbranch_execz .LBB2_48
; %bb.47:                               ;   in Loop: Header=BB2_34 Depth=1
	v_cvt_f32_u32_e32 v10, s2
	v_cvt_f32_u32_e32 v11, s3
	s_sub_u32 s0, 0, s2
	s_subb_u32 s1, 0, s3
	v_madmk_f32 v10, v11, 0x4f800000, v10
	v_rcp_f32_e32 v10, v10
	v_mul_f32_e32 v10, 0x5f7ffffc, v10
	v_mul_f32_e32 v11, 0x2f800000, v10
	v_trunc_f32_e32 v11, v11
	v_madmk_f32 v10, v11, 0xcf800000, v10
	v_cvt_u32_f32_e32 v11, v11
	v_cvt_u32_f32_e32 v10, v10
	v_mul_lo_u32 v14, s0, v11
	v_mul_hi_u32 v16, s0, v10
	v_mul_lo_u32 v15, s1, v10
	v_add_u32_e32 v14, v16, v14
	v_mul_lo_u32 v17, s0, v10
	v_add_u32_e32 v14, v14, v15
	v_mul_hi_u32 v16, v10, v17
	v_mul_lo_u32 v18, v10, v14
	v_mul_hi_u32 v15, v10, v14
	v_add_co_u32_e32 v16, vcc, v16, v18
	v_addc_co_u32_e32 v15, vcc, 0, v15, vcc
	v_mul_hi_u32 v19, v11, v17
	v_mul_lo_u32 v17, v11, v17
	v_add_co_u32_e32 v16, vcc, v16, v17
	v_mul_hi_u32 v18, v11, v14
	v_addc_co_u32_e32 v15, vcc, v15, v19, vcc
	v_addc_co_u32_e32 v16, vcc, 0, v18, vcc
	v_mul_lo_u32 v14, v11, v14
	v_add_co_u32_e32 v14, vcc, v15, v14
	v_addc_co_u32_e32 v15, vcc, 0, v16, vcc
	v_add_co_u32_e32 v10, vcc, v10, v14
	v_addc_co_u32_e32 v11, vcc, v11, v15, vcc
	v_mul_lo_u32 v14, s0, v11
	v_mul_hi_u32 v15, s0, v10
	v_add_u32_e32 v14, v15, v14
	v_mul_lo_u32 v15, s1, v10
	v_add_u32_e32 v14, v14, v15
	v_mul_lo_u32 v16, s0, v10
	v_mul_hi_u32 v17, v11, v16
	v_mul_lo_u32 v18, v11, v16
	v_mul_lo_u32 v20, v10, v14
	v_mul_hi_u32 v16, v10, v16
	v_mul_hi_u32 v19, v10, v14
	v_add_co_u32_e32 v16, vcc, v16, v20
	v_addc_co_u32_e32 v19, vcc, 0, v19, vcc
	v_add_co_u32_e32 v16, vcc, v16, v18
	v_mul_hi_u32 v15, v11, v14
	v_addc_co_u32_e32 v16, vcc, v19, v17, vcc
	v_addc_co_u32_e32 v15, vcc, 0, v15, vcc
	v_mul_lo_u32 v14, v11, v14
	v_add_co_u32_e32 v14, vcc, v16, v14
	v_addc_co_u32_e32 v15, vcc, 0, v15, vcc
	v_add_co_u32_e32 v14, vcc, v10, v14
	v_addc_co_u32_e32 v15, vcc, v11, v15, vcc
	v_mad_u64_u32 v[10:11], s[0:1], v12, v15, 0
	v_mul_hi_u32 v16, v12, v14
	v_add_co_u32_e32 v16, vcc, v16, v10
	v_addc_co_u32_e32 v17, vcc, 0, v11, vcc
	v_mad_u64_u32 v[10:11], s[0:1], v13, v15, 0
	v_mad_u64_u32 v[14:15], s[0:1], v13, v14, 0
	v_add_co_u32_e32 v14, vcc, v16, v14
	v_addc_co_u32_e32 v14, vcc, v17, v15, vcc
	v_addc_co_u32_e32 v11, vcc, 0, v11, vcc
	v_add_co_u32_e32 v14, vcc, v14, v10
	v_addc_co_u32_e32 v15, vcc, 0, v11, vcc
	v_mul_lo_u32 v16, s3, v14
	v_mul_lo_u32 v17, s2, v15
	v_mad_u64_u32 v[10:11], s[0:1], s2, v14, 0
	v_add3_u32 v11, v11, v17, v16
	v_sub_u32_e32 v16, v13, v11
	v_mov_b32_e32 v17, s3
	v_sub_co_u32_e32 v10, vcc, v12, v10
	v_subb_co_u32_e64 v16, s[0:1], v16, v17, vcc
	v_subrev_co_u32_e64 v17, s[0:1], s2, v10
	v_subbrev_co_u32_e64 v16, s[0:1], 0, v16, s[0:1]
	v_cmp_le_u32_e64 s[0:1], s3, v16
	v_cndmask_b32_e64 v18, 0, -1, s[0:1]
	v_cmp_le_u32_e64 s[0:1], s2, v17
	v_cndmask_b32_e64 v17, 0, -1, s[0:1]
	v_cmp_eq_u32_e64 s[0:1], s3, v16
	v_cndmask_b32_e64 v16, v18, v17, s[0:1]
	v_add_co_u32_e64 v17, s[0:1], 2, v14
	v_addc_co_u32_e64 v18, s[0:1], 0, v15, s[0:1]
	v_add_co_u32_e64 v19, s[0:1], 1, v14
	v_addc_co_u32_e64 v20, s[0:1], 0, v15, s[0:1]
	v_subb_co_u32_e32 v11, vcc, v13, v11, vcc
	v_cmp_ne_u32_e64 s[0:1], 0, v16
	v_cmp_le_u32_e32 vcc, s3, v11
	v_cndmask_b32_e64 v16, v20, v18, s[0:1]
	v_cndmask_b32_e64 v18, 0, -1, vcc
	v_cmp_le_u32_e32 vcc, s2, v10
	v_cndmask_b32_e64 v10, 0, -1, vcc
	v_cmp_eq_u32_e32 vcc, s3, v11
	v_cndmask_b32_e32 v10, v18, v10, vcc
	v_cmp_ne_u32_e32 vcc, 0, v10
	v_cndmask_b32_e64 v10, v19, v17, s[0:1]
	v_cndmask_b32_e32 v11, v15, v16, vcc
	v_cndmask_b32_e32 v10, v14, v10, vcc
.LBB2_48:                               ;   in Loop: Header=BB2_34 Depth=1
	s_andn2_saveexec_b64 s[0:1], s[44:45]
	s_cbranch_execz .LBB2_33
; %bb.49:                               ;   in Loop: Header=BB2_34 Depth=1
	v_mov_b32_e32 v10, s16
	v_alignbit_b32 v10, s17, v10, 2
	v_cvt_f32_u32_e32 v11, v10
	v_sub_u32_e32 v14, 0, v10
	v_rcp_iflag_f32_e32 v11, v11
	v_mul_f32_e32 v11, 0x4f7ffffe, v11
	v_cvt_u32_f32_e32 v11, v11
	v_mul_lo_u32 v14, v14, v11
	v_mul_hi_u32 v14, v11, v14
	v_add_u32_e32 v11, v11, v14
	v_mul_hi_u32 v11, v12, v11
	v_mul_lo_u32 v14, v11, v10
	v_sub_u32_e32 v14, v12, v14
	v_add_u32_e32 v15, 1, v11
	v_sub_u32_e32 v16, v14, v10
	v_cmp_ge_u32_e32 vcc, v14, v10
	v_cndmask_b32_e32 v14, v14, v16, vcc
	v_cndmask_b32_e32 v11, v11, v15, vcc
	v_add_u32_e32 v15, 1, v11
	v_cmp_ge_u32_e32 vcc, v14, v10
	v_cndmask_b32_e32 v10, v11, v15, vcc
	v_mov_b32_e32 v11, 0
	s_branch .LBB2_33
.LBB2_50:                               ;   in Loop: Header=BB2_51 Depth=1
	s_or_b64 exec, exec, s[0:1]
	v_mul_lo_u32 v16, v11, s16
	v_mul_lo_u32 v17, v10, s17
	v_mad_u64_u32 v[14:15], s[0:1], v10, s16, 0
	v_add3_u32 v15, v15, v17, v16
	v_sub_co_u32_e32 v22, vcc, v12, v14
	v_subb_co_u32_e32 v23, vcc, v13, v15, vcc
	v_mul_lo_u32 v14, v5, s18
	v_mul_lo_u32 v15, v4, s19
	v_mad_u64_u32 v[12:13], s[0:1], v4, s18, 0
	v_add3_u32 v13, v13, v15, v14
	v_mul_lo_u32 v16, v7, s20
	v_mul_lo_u32 v17, v6, s21
	v_mad_u64_u32 v[14:15], s[0:1], v6, s20, 0
	v_add3_u32 v15, v15, v17, v16
	;; [unrolled: 4-line block ×4, first 2 shown]
	v_mul_lo_u32 v24, v23, s26
	v_mul_lo_u32 v25, v22, s27
	v_mad_u64_u32 v[20:21], s[0:1], v22, s26, 0
	v_lshlrev_b64 v[12:13], 2, v[12:13]
	v_add3_u32 v21, v21, v25, v24
	v_mov_b32_e32 v24, s37
	v_add_co_u32_e32 v25, vcc, s36, v12
	v_addc_co_u32_e32 v24, vcc, v24, v13, vcc
	v_lshlrev_b64 v[12:13], 2, v[14:15]
	v_add_co_u32_e32 v14, vcc, v25, v12
	v_addc_co_u32_e32 v15, vcc, v24, v13, vcc
	v_lshlrev_b64 v[12:13], 2, v[16:17]
	;; [unrolled: 3-line block ×4, first 2 shown]
	v_add_co_u32_e32 v12, vcc, v14, v12
	v_addc_co_u32_e32 v13, vcc, v15, v13, vcc
	global_load_dword v14, v[12:13], off
	v_mul_lo_u32 v12, v5, s28
	v_mul_lo_u32 v13, v4, s29
	v_mad_u64_u32 v[4:5], s[0:1], v4, s28, 0
	v_add3_u32 v5, v5, v13, v12
	v_mul_lo_u32 v12, v7, s30
	v_mul_lo_u32 v13, v6, s31
	v_mad_u64_u32 v[6:7], s[0:1], v6, s30, 0
	v_add3_u32 v7, v7, v13, v12
	v_mul_lo_u32 v12, v9, s40
	v_mul_lo_u32 v13, v8, s41
	v_mad_u64_u32 v[8:9], s[0:1], v8, s40, 0
	v_add3_u32 v9, v9, v13, v12
	v_mul_lo_u32 v12, v11, s42
	v_mul_lo_u32 v13, v10, s43
	v_mad_u64_u32 v[10:11], s[0:1], v10, s42, 0
	v_add3_u32 v11, v11, v13, v12
	v_mul_lo_u32 v15, v23, s4
	v_mul_lo_u32 v16, v22, s5
	v_mad_u64_u32 v[12:13], s[0:1], v22, s4, 0
	v_lshlrev_b64 v[4:5], 2, v[4:5]
	v_add3_u32 v13, v13, v16, v15
	v_mov_b32_e32 v15, s39
	v_add_co_u32_e32 v16, vcc, s38, v4
	v_addc_co_u32_e32 v15, vcc, v15, v5, vcc
	v_lshlrev_b64 v[4:5], 2, v[6:7]
	v_add_co_u32_e32 v6, vcc, v16, v4
	v_addc_co_u32_e32 v7, vcc, v15, v5, vcc
	v_lshlrev_b64 v[4:5], 2, v[8:9]
	;; [unrolled: 3-line block ×4, first 2 shown]
	v_add_co_u32_e32 v4, vcc, v6, v4
	v_addc_co_u32_e32 v5, vcc, v7, v5, vcc
	v_mov_b32_e32 v6, s33
	v_add_co_u32_e32 v2, vcc, s48, v2
	v_addc_co_u32_e32 v3, vcc, v3, v6, vcc
	v_cmp_le_u64_e32 vcc, s[2:3], v[2:3]
	s_or_b64 s[6:7], vcc, s[6:7]
	s_waitcnt vmcnt(0)
	global_store_dword v[4:5], v14, off
	s_andn2_b64 exec, exec, s[6:7]
	s_cbranch_execz .LBB2_4
.LBB2_51:                               ; =>This Inner Loop Header: Depth=1
	v_or_b32_e32 v5, s51, v3
	v_mov_b32_e32 v4, 0
	v_cmp_ne_u64_e32 vcc, 0, v[4:5]
                                        ; implicit-def: $vgpr4_vgpr5
	s_and_saveexec_b64 s[0:1], vcc
	s_xor_b64 s[44:45], exec, s[0:1]
	s_cbranch_execz .LBB2_53
; %bb.52:                               ;   in Loop: Header=BB2_51 Depth=1
	v_cvt_f32_u32_e32 v4, s52
	v_cvt_f32_u32_e32 v5, s51
	s_sub_u32 s0, 0, s52
	s_subb_u32 s1, 0, s51
	v_madmk_f32 v4, v5, 0x4f800000, v4
	v_rcp_f32_e32 v4, v4
	v_mul_f32_e32 v4, 0x5f7ffffc, v4
	v_mul_f32_e32 v5, 0x2f800000, v4
	v_trunc_f32_e32 v5, v5
	v_madmk_f32 v4, v5, 0xcf800000, v4
	v_cvt_u32_f32_e32 v5, v5
	v_cvt_u32_f32_e32 v4, v4
	v_mul_lo_u32 v6, s0, v5
	v_mul_hi_u32 v8, s0, v4
	v_mul_lo_u32 v7, s1, v4
	v_add_u32_e32 v6, v8, v6
	v_mul_lo_u32 v9, s0, v4
	v_add_u32_e32 v6, v6, v7
	v_mul_hi_u32 v8, v4, v9
	v_mul_lo_u32 v10, v4, v6
	v_mul_hi_u32 v7, v4, v6
	v_add_co_u32_e32 v8, vcc, v8, v10
	v_addc_co_u32_e32 v7, vcc, 0, v7, vcc
	v_mul_hi_u32 v11, v5, v9
	v_mul_lo_u32 v9, v5, v9
	v_add_co_u32_e32 v8, vcc, v8, v9
	v_mul_hi_u32 v10, v5, v6
	v_addc_co_u32_e32 v7, vcc, v7, v11, vcc
	v_addc_co_u32_e32 v8, vcc, 0, v10, vcc
	v_mul_lo_u32 v6, v5, v6
	v_add_co_u32_e32 v6, vcc, v7, v6
	v_addc_co_u32_e32 v7, vcc, 0, v8, vcc
	v_add_co_u32_e32 v4, vcc, v4, v6
	v_addc_co_u32_e32 v5, vcc, v5, v7, vcc
	v_mul_lo_u32 v6, s0, v5
	v_mul_hi_u32 v7, s0, v4
	v_add_u32_e32 v6, v7, v6
	v_mul_lo_u32 v7, s1, v4
	v_add_u32_e32 v6, v6, v7
	v_mul_lo_u32 v8, s0, v4
	v_mul_hi_u32 v9, v5, v8
	v_mul_lo_u32 v10, v5, v8
	v_mul_lo_u32 v12, v4, v6
	v_mul_hi_u32 v8, v4, v8
	v_mul_hi_u32 v11, v4, v6
	v_add_co_u32_e32 v8, vcc, v8, v12
	v_addc_co_u32_e32 v11, vcc, 0, v11, vcc
	v_add_co_u32_e32 v8, vcc, v8, v10
	v_mul_hi_u32 v7, v5, v6
	v_addc_co_u32_e32 v8, vcc, v11, v9, vcc
	v_addc_co_u32_e32 v7, vcc, 0, v7, vcc
	v_mul_lo_u32 v6, v5, v6
	v_add_co_u32_e32 v6, vcc, v8, v6
	v_addc_co_u32_e32 v7, vcc, 0, v7, vcc
	v_add_co_u32_e32 v6, vcc, v4, v6
	v_addc_co_u32_e32 v7, vcc, v5, v7, vcc
	v_mad_u64_u32 v[4:5], s[0:1], v2, v7, 0
	v_mul_hi_u32 v8, v2, v6
	v_add_co_u32_e32 v8, vcc, v8, v4
	v_addc_co_u32_e32 v9, vcc, 0, v5, vcc
	v_mad_u64_u32 v[4:5], s[0:1], v3, v7, 0
	v_mad_u64_u32 v[6:7], s[0:1], v3, v6, 0
	v_add_co_u32_e32 v6, vcc, v8, v6
	v_addc_co_u32_e32 v6, vcc, v9, v7, vcc
	v_addc_co_u32_e32 v5, vcc, 0, v5, vcc
	v_add_co_u32_e32 v6, vcc, v6, v4
	v_addc_co_u32_e32 v7, vcc, 0, v5, vcc
	v_mul_lo_u32 v8, s51, v6
	v_mul_lo_u32 v9, s52, v7
	v_mad_u64_u32 v[4:5], s[0:1], s52, v6, 0
	v_add3_u32 v5, v5, v9, v8
	v_sub_u32_e32 v8, v3, v5
	v_mov_b32_e32 v9, s51
	v_sub_co_u32_e32 v4, vcc, v2, v4
	v_subb_co_u32_e64 v8, s[0:1], v8, v9, vcc
	v_subrev_co_u32_e64 v9, s[0:1], s52, v4
	v_subbrev_co_u32_e64 v8, s[0:1], 0, v8, s[0:1]
	v_cmp_le_u32_e64 s[0:1], s51, v8
	v_cndmask_b32_e64 v10, 0, -1, s[0:1]
	v_cmp_le_u32_e64 s[0:1], s52, v9
	v_cndmask_b32_e64 v9, 0, -1, s[0:1]
	v_cmp_eq_u32_e64 s[0:1], s51, v8
	v_cndmask_b32_e64 v8, v10, v9, s[0:1]
	v_add_co_u32_e64 v9, s[0:1], 2, v6
	v_addc_co_u32_e64 v10, s[0:1], 0, v7, s[0:1]
	v_add_co_u32_e64 v11, s[0:1], 1, v6
	v_addc_co_u32_e64 v12, s[0:1], 0, v7, s[0:1]
	v_subb_co_u32_e32 v5, vcc, v3, v5, vcc
	v_cmp_ne_u32_e64 s[0:1], 0, v8
	v_cmp_le_u32_e32 vcc, s51, v5
	v_cndmask_b32_e64 v8, v12, v10, s[0:1]
	v_cndmask_b32_e64 v10, 0, -1, vcc
	v_cmp_le_u32_e32 vcc, s52, v4
	v_cndmask_b32_e64 v4, 0, -1, vcc
	v_cmp_eq_u32_e32 vcc, s51, v5
	v_cndmask_b32_e32 v4, v10, v4, vcc
	v_cmp_ne_u32_e32 vcc, 0, v4
	v_cndmask_b32_e64 v4, v11, v9, s[0:1]
	v_cndmask_b32_e32 v5, v7, v8, vcc
	v_cndmask_b32_e32 v4, v6, v4, vcc
.LBB2_53:                               ;   in Loop: Header=BB2_51 Depth=1
	s_andn2_saveexec_b64 s[0:1], s[44:45]
	s_cbranch_execz .LBB2_55
; %bb.54:                               ;   in Loop: Header=BB2_51 Depth=1
	v_cvt_f32_u32_e32 v4, s52
	s_sub_i32 s44, 0, s52
	v_rcp_iflag_f32_e32 v4, v4
	v_mul_f32_e32 v4, 0x4f7ffffe, v4
	v_cvt_u32_f32_e32 v4, v4
	v_mul_lo_u32 v5, s44, v4
	v_mul_hi_u32 v5, v4, v5
	v_add_u32_e32 v4, v4, v5
	v_mul_hi_u32 v4, v2, v4
	v_mul_lo_u32 v5, v4, s52
	v_sub_u32_e32 v5, v2, v5
	v_add_u32_e32 v6, 1, v4
	v_subrev_u32_e32 v7, s52, v5
	v_cmp_le_u32_e32 vcc, s52, v5
	v_cndmask_b32_e32 v5, v5, v7, vcc
	v_cndmask_b32_e32 v4, v4, v6, vcc
	v_add_u32_e32 v6, 1, v4
	v_cmp_le_u32_e32 vcc, s52, v5
	v_cndmask_b32_e32 v4, v4, v6, vcc
	v_mov_b32_e32 v5, 0
.LBB2_55:                               ;   in Loop: Header=BB2_51 Depth=1
	s_or_b64 exec, exec, s[0:1]
	v_mul_lo_u32 v8, v5, s52
	v_mul_lo_u32 v9, v4, s51
	v_mad_u64_u32 v[6:7], s[0:1], v4, s52, 0
	v_add3_u32 v7, v7, v9, v8
	v_sub_co_u32_e32 v8, vcc, v2, v6
	v_subb_co_u32_e32 v9, vcc, v3, v7, vcc
	v_or_b32_e32 v7, s49, v9
	v_mov_b32_e32 v6, 0
	v_cmp_ne_u64_e32 vcc, 0, v[6:7]
                                        ; implicit-def: $vgpr6_vgpr7
	s_and_saveexec_b64 s[0:1], vcc
	s_xor_b64 s[44:45], exec, s[0:1]
	s_cbranch_execz .LBB2_57
; %bb.56:                               ;   in Loop: Header=BB2_51 Depth=1
	v_cvt_f32_u32_e32 v6, s50
	v_cvt_f32_u32_e32 v7, s49
	s_sub_u32 s0, 0, s50
	s_subb_u32 s1, 0, s49
	v_madmk_f32 v6, v7, 0x4f800000, v6
	v_rcp_f32_e32 v6, v6
	v_mul_f32_e32 v6, 0x5f7ffffc, v6
	v_mul_f32_e32 v7, 0x2f800000, v6
	v_trunc_f32_e32 v7, v7
	v_madmk_f32 v6, v7, 0xcf800000, v6
	v_cvt_u32_f32_e32 v7, v7
	v_cvt_u32_f32_e32 v6, v6
	v_mul_lo_u32 v10, s0, v7
	v_mul_hi_u32 v12, s0, v6
	v_mul_lo_u32 v11, s1, v6
	v_add_u32_e32 v10, v12, v10
	v_mul_lo_u32 v13, s0, v6
	v_add_u32_e32 v10, v10, v11
	v_mul_hi_u32 v12, v6, v13
	v_mul_lo_u32 v14, v6, v10
	v_mul_hi_u32 v11, v6, v10
	v_add_co_u32_e32 v12, vcc, v12, v14
	v_addc_co_u32_e32 v11, vcc, 0, v11, vcc
	v_mul_hi_u32 v15, v7, v13
	v_mul_lo_u32 v13, v7, v13
	v_add_co_u32_e32 v12, vcc, v12, v13
	v_mul_hi_u32 v14, v7, v10
	v_addc_co_u32_e32 v11, vcc, v11, v15, vcc
	v_addc_co_u32_e32 v12, vcc, 0, v14, vcc
	v_mul_lo_u32 v10, v7, v10
	v_add_co_u32_e32 v10, vcc, v11, v10
	v_addc_co_u32_e32 v11, vcc, 0, v12, vcc
	v_add_co_u32_e32 v6, vcc, v6, v10
	v_addc_co_u32_e32 v7, vcc, v7, v11, vcc
	v_mul_lo_u32 v10, s0, v7
	v_mul_hi_u32 v11, s0, v6
	v_add_u32_e32 v10, v11, v10
	v_mul_lo_u32 v11, s1, v6
	v_add_u32_e32 v10, v10, v11
	v_mul_lo_u32 v12, s0, v6
	v_mul_hi_u32 v13, v7, v12
	v_mul_lo_u32 v14, v7, v12
	v_mul_lo_u32 v16, v6, v10
	v_mul_hi_u32 v12, v6, v12
	v_mul_hi_u32 v15, v6, v10
	v_add_co_u32_e32 v12, vcc, v12, v16
	v_addc_co_u32_e32 v15, vcc, 0, v15, vcc
	v_add_co_u32_e32 v12, vcc, v12, v14
	v_mul_hi_u32 v11, v7, v10
	v_addc_co_u32_e32 v12, vcc, v15, v13, vcc
	v_addc_co_u32_e32 v11, vcc, 0, v11, vcc
	v_mul_lo_u32 v10, v7, v10
	v_add_co_u32_e32 v10, vcc, v12, v10
	v_addc_co_u32_e32 v11, vcc, 0, v11, vcc
	v_add_co_u32_e32 v10, vcc, v6, v10
	v_addc_co_u32_e32 v11, vcc, v7, v11, vcc
	v_mad_u64_u32 v[6:7], s[0:1], v8, v11, 0
	v_mul_hi_u32 v12, v8, v10
	v_add_co_u32_e32 v12, vcc, v12, v6
	v_addc_co_u32_e32 v13, vcc, 0, v7, vcc
	v_mad_u64_u32 v[6:7], s[0:1], v9, v11, 0
	v_mad_u64_u32 v[10:11], s[0:1], v9, v10, 0
	v_add_co_u32_e32 v10, vcc, v12, v10
	v_addc_co_u32_e32 v10, vcc, v13, v11, vcc
	v_addc_co_u32_e32 v7, vcc, 0, v7, vcc
	v_add_co_u32_e32 v10, vcc, v10, v6
	v_addc_co_u32_e32 v11, vcc, 0, v7, vcc
	v_mul_lo_u32 v12, s49, v10
	v_mul_lo_u32 v13, s50, v11
	v_mad_u64_u32 v[6:7], s[0:1], s50, v10, 0
	v_add3_u32 v7, v7, v13, v12
	v_sub_u32_e32 v12, v9, v7
	v_mov_b32_e32 v13, s49
	v_sub_co_u32_e32 v6, vcc, v8, v6
	v_subb_co_u32_e64 v12, s[0:1], v12, v13, vcc
	v_subrev_co_u32_e64 v13, s[0:1], s50, v6
	v_subbrev_co_u32_e64 v12, s[0:1], 0, v12, s[0:1]
	v_cmp_le_u32_e64 s[0:1], s49, v12
	v_cndmask_b32_e64 v14, 0, -1, s[0:1]
	v_cmp_le_u32_e64 s[0:1], s50, v13
	v_cndmask_b32_e64 v13, 0, -1, s[0:1]
	v_cmp_eq_u32_e64 s[0:1], s49, v12
	v_cndmask_b32_e64 v12, v14, v13, s[0:1]
	v_add_co_u32_e64 v13, s[0:1], 2, v10
	v_addc_co_u32_e64 v14, s[0:1], 0, v11, s[0:1]
	v_add_co_u32_e64 v15, s[0:1], 1, v10
	v_addc_co_u32_e64 v16, s[0:1], 0, v11, s[0:1]
	v_subb_co_u32_e32 v7, vcc, v9, v7, vcc
	v_cmp_ne_u32_e64 s[0:1], 0, v12
	v_cmp_le_u32_e32 vcc, s49, v7
	v_cndmask_b32_e64 v12, v16, v14, s[0:1]
	v_cndmask_b32_e64 v14, 0, -1, vcc
	v_cmp_le_u32_e32 vcc, s50, v6
	v_cndmask_b32_e64 v6, 0, -1, vcc
	v_cmp_eq_u32_e32 vcc, s49, v7
	v_cndmask_b32_e32 v6, v14, v6, vcc
	v_cmp_ne_u32_e32 vcc, 0, v6
	v_cndmask_b32_e64 v6, v15, v13, s[0:1]
	v_cndmask_b32_e32 v7, v11, v12, vcc
	v_cndmask_b32_e32 v6, v10, v6, vcc
.LBB2_57:                               ;   in Loop: Header=BB2_51 Depth=1
	s_andn2_saveexec_b64 s[0:1], s[44:45]
	s_cbranch_execz .LBB2_59
; %bb.58:                               ;   in Loop: Header=BB2_51 Depth=1
	v_cvt_f32_u32_e32 v6, s50
	s_sub_i32 s44, 0, s50
	v_rcp_iflag_f32_e32 v6, v6
	v_mul_f32_e32 v6, 0x4f7ffffe, v6
	v_cvt_u32_f32_e32 v6, v6
	v_mul_lo_u32 v7, s44, v6
	v_mul_hi_u32 v7, v6, v7
	v_add_u32_e32 v6, v6, v7
	v_mul_hi_u32 v6, v8, v6
	v_mul_lo_u32 v7, v6, s50
	v_sub_u32_e32 v7, v8, v7
	v_add_u32_e32 v10, 1, v6
	v_subrev_u32_e32 v11, s50, v7
	v_cmp_le_u32_e32 vcc, s50, v7
	v_cndmask_b32_e32 v7, v7, v11, vcc
	v_cndmask_b32_e32 v6, v6, v10, vcc
	v_add_u32_e32 v10, 1, v6
	v_cmp_le_u32_e32 vcc, s50, v7
	v_cndmask_b32_e32 v6, v6, v10, vcc
	v_mov_b32_e32 v7, 0
.LBB2_59:                               ;   in Loop: Header=BB2_51 Depth=1
	s_or_b64 exec, exec, s[0:1]
	v_mul_lo_u32 v12, v7, s50
	v_mul_lo_u32 v13, v6, s49
	v_mad_u64_u32 v[10:11], s[0:1], v6, s50, 0
	v_add3_u32 v11, v11, v13, v12
	v_sub_co_u32_e32 v10, vcc, v8, v10
	v_subb_co_u32_e32 v11, vcc, v9, v11, vcc
	v_or_b32_e32 v9, s46, v11
	v_mov_b32_e32 v8, 0
	v_cmp_ne_u64_e32 vcc, 0, v[8:9]
                                        ; implicit-def: $vgpr8_vgpr9
	s_and_saveexec_b64 s[0:1], vcc
	s_xor_b64 s[44:45], exec, s[0:1]
	s_cbranch_execz .LBB2_61
; %bb.60:                               ;   in Loop: Header=BB2_51 Depth=1
	v_cvt_f32_u32_e32 v8, s47
	v_cvt_f32_u32_e32 v9, s46
	s_sub_u32 s0, 0, s47
	s_subb_u32 s1, 0, s46
	v_madmk_f32 v8, v9, 0x4f800000, v8
	v_rcp_f32_e32 v8, v8
	v_mul_f32_e32 v8, 0x5f7ffffc, v8
	v_mul_f32_e32 v9, 0x2f800000, v8
	v_trunc_f32_e32 v9, v9
	v_madmk_f32 v8, v9, 0xcf800000, v8
	v_cvt_u32_f32_e32 v9, v9
	v_cvt_u32_f32_e32 v8, v8
	v_mul_lo_u32 v12, s0, v9
	v_mul_hi_u32 v14, s0, v8
	v_mul_lo_u32 v13, s1, v8
	v_add_u32_e32 v12, v14, v12
	v_mul_lo_u32 v15, s0, v8
	v_add_u32_e32 v12, v12, v13
	v_mul_hi_u32 v14, v8, v15
	v_mul_lo_u32 v16, v8, v12
	v_mul_hi_u32 v13, v8, v12
	v_add_co_u32_e32 v14, vcc, v14, v16
	v_addc_co_u32_e32 v13, vcc, 0, v13, vcc
	v_mul_hi_u32 v17, v9, v15
	v_mul_lo_u32 v15, v9, v15
	v_add_co_u32_e32 v14, vcc, v14, v15
	v_mul_hi_u32 v16, v9, v12
	v_addc_co_u32_e32 v13, vcc, v13, v17, vcc
	v_addc_co_u32_e32 v14, vcc, 0, v16, vcc
	v_mul_lo_u32 v12, v9, v12
	v_add_co_u32_e32 v12, vcc, v13, v12
	v_addc_co_u32_e32 v13, vcc, 0, v14, vcc
	v_add_co_u32_e32 v8, vcc, v8, v12
	v_addc_co_u32_e32 v9, vcc, v9, v13, vcc
	v_mul_lo_u32 v12, s0, v9
	v_mul_hi_u32 v13, s0, v8
	v_add_u32_e32 v12, v13, v12
	v_mul_lo_u32 v13, s1, v8
	v_add_u32_e32 v12, v12, v13
	v_mul_lo_u32 v14, s0, v8
	v_mul_hi_u32 v15, v9, v14
	v_mul_lo_u32 v16, v9, v14
	v_mul_lo_u32 v18, v8, v12
	v_mul_hi_u32 v14, v8, v14
	v_mul_hi_u32 v17, v8, v12
	v_add_co_u32_e32 v14, vcc, v14, v18
	v_addc_co_u32_e32 v17, vcc, 0, v17, vcc
	v_add_co_u32_e32 v14, vcc, v14, v16
	v_mul_hi_u32 v13, v9, v12
	v_addc_co_u32_e32 v14, vcc, v17, v15, vcc
	v_addc_co_u32_e32 v13, vcc, 0, v13, vcc
	v_mul_lo_u32 v12, v9, v12
	v_add_co_u32_e32 v12, vcc, v14, v12
	v_addc_co_u32_e32 v13, vcc, 0, v13, vcc
	v_add_co_u32_e32 v12, vcc, v8, v12
	v_addc_co_u32_e32 v13, vcc, v9, v13, vcc
	v_mad_u64_u32 v[8:9], s[0:1], v10, v13, 0
	v_mul_hi_u32 v14, v10, v12
	v_add_co_u32_e32 v14, vcc, v14, v8
	v_addc_co_u32_e32 v15, vcc, 0, v9, vcc
	v_mad_u64_u32 v[8:9], s[0:1], v11, v13, 0
	v_mad_u64_u32 v[12:13], s[0:1], v11, v12, 0
	v_add_co_u32_e32 v12, vcc, v14, v12
	v_addc_co_u32_e32 v12, vcc, v15, v13, vcc
	v_addc_co_u32_e32 v9, vcc, 0, v9, vcc
	v_add_co_u32_e32 v12, vcc, v12, v8
	v_addc_co_u32_e32 v13, vcc, 0, v9, vcc
	v_mul_lo_u32 v14, s46, v12
	v_mul_lo_u32 v15, s47, v13
	v_mad_u64_u32 v[8:9], s[0:1], s47, v12, 0
	v_add3_u32 v9, v9, v15, v14
	v_sub_u32_e32 v14, v11, v9
	v_mov_b32_e32 v15, s46
	v_sub_co_u32_e32 v8, vcc, v10, v8
	v_subb_co_u32_e64 v14, s[0:1], v14, v15, vcc
	v_subrev_co_u32_e64 v15, s[0:1], s47, v8
	v_subbrev_co_u32_e64 v14, s[0:1], 0, v14, s[0:1]
	v_cmp_le_u32_e64 s[0:1], s46, v14
	v_cndmask_b32_e64 v16, 0, -1, s[0:1]
	v_cmp_le_u32_e64 s[0:1], s47, v15
	v_cndmask_b32_e64 v15, 0, -1, s[0:1]
	v_cmp_eq_u32_e64 s[0:1], s46, v14
	v_cndmask_b32_e64 v14, v16, v15, s[0:1]
	v_add_co_u32_e64 v15, s[0:1], 2, v12
	v_addc_co_u32_e64 v16, s[0:1], 0, v13, s[0:1]
	v_add_co_u32_e64 v17, s[0:1], 1, v12
	v_addc_co_u32_e64 v18, s[0:1], 0, v13, s[0:1]
	v_subb_co_u32_e32 v9, vcc, v11, v9, vcc
	v_cmp_ne_u32_e64 s[0:1], 0, v14
	v_cmp_le_u32_e32 vcc, s46, v9
	v_cndmask_b32_e64 v14, v18, v16, s[0:1]
	v_cndmask_b32_e64 v16, 0, -1, vcc
	v_cmp_le_u32_e32 vcc, s47, v8
	v_cndmask_b32_e64 v8, 0, -1, vcc
	v_cmp_eq_u32_e32 vcc, s46, v9
	v_cndmask_b32_e32 v8, v16, v8, vcc
	v_cmp_ne_u32_e32 vcc, 0, v8
	v_cndmask_b32_e64 v8, v17, v15, s[0:1]
	v_cndmask_b32_e32 v9, v13, v14, vcc
	v_cndmask_b32_e32 v8, v12, v8, vcc
.LBB2_61:                               ;   in Loop: Header=BB2_51 Depth=1
	s_andn2_saveexec_b64 s[0:1], s[44:45]
	s_cbranch_execz .LBB2_63
; %bb.62:                               ;   in Loop: Header=BB2_51 Depth=1
	v_cvt_f32_u32_e32 v8, s47
	s_sub_i32 s44, 0, s47
	v_rcp_iflag_f32_e32 v8, v8
	v_mul_f32_e32 v8, 0x4f7ffffe, v8
	v_cvt_u32_f32_e32 v8, v8
	v_mul_lo_u32 v9, s44, v8
	v_mul_hi_u32 v9, v8, v9
	v_add_u32_e32 v8, v8, v9
	v_mul_hi_u32 v8, v10, v8
	v_mul_lo_u32 v9, v8, s47
	v_sub_u32_e32 v9, v10, v9
	v_add_u32_e32 v12, 1, v8
	v_subrev_u32_e32 v13, s47, v9
	v_cmp_le_u32_e32 vcc, s47, v9
	v_cndmask_b32_e32 v9, v9, v13, vcc
	v_cndmask_b32_e32 v8, v8, v12, vcc
	v_add_u32_e32 v12, 1, v8
	v_cmp_le_u32_e32 vcc, s47, v9
	v_cndmask_b32_e32 v8, v8, v12, vcc
	v_mov_b32_e32 v9, 0
.LBB2_63:                               ;   in Loop: Header=BB2_51 Depth=1
	s_or_b64 exec, exec, s[0:1]
	v_mul_lo_u32 v14, v9, s47
	v_mul_lo_u32 v15, v8, s46
	v_mad_u64_u32 v[12:13], s[0:1], v8, s47, 0
	v_add3_u32 v13, v13, v15, v14
	v_sub_co_u32_e32 v12, vcc, v10, v12
	v_subb_co_u32_e32 v13, vcc, v11, v13, vcc
	v_or_b32_e32 v11, s17, v13
	v_mov_b32_e32 v10, 0
	v_cmp_ne_u64_e32 vcc, 0, v[10:11]
                                        ; implicit-def: $vgpr10_vgpr11
	s_and_saveexec_b64 s[0:1], vcc
	s_xor_b64 s[44:45], exec, s[0:1]
	s_cbranch_execz .LBB2_65
; %bb.64:                               ;   in Loop: Header=BB2_51 Depth=1
	v_cvt_f32_u32_e32 v10, s16
	v_cvt_f32_u32_e32 v11, s17
	s_sub_u32 s0, 0, s16
	s_subb_u32 s1, 0, s17
	v_madmk_f32 v10, v11, 0x4f800000, v10
	v_rcp_f32_e32 v10, v10
	v_mul_f32_e32 v10, 0x5f7ffffc, v10
	v_mul_f32_e32 v11, 0x2f800000, v10
	v_trunc_f32_e32 v11, v11
	v_madmk_f32 v10, v11, 0xcf800000, v10
	v_cvt_u32_f32_e32 v11, v11
	v_cvt_u32_f32_e32 v10, v10
	v_mul_lo_u32 v14, s0, v11
	v_mul_hi_u32 v16, s0, v10
	v_mul_lo_u32 v15, s1, v10
	v_add_u32_e32 v14, v16, v14
	v_mul_lo_u32 v17, s0, v10
	v_add_u32_e32 v14, v14, v15
	v_mul_hi_u32 v16, v10, v17
	v_mul_lo_u32 v18, v10, v14
	v_mul_hi_u32 v15, v10, v14
	v_add_co_u32_e32 v16, vcc, v16, v18
	v_addc_co_u32_e32 v15, vcc, 0, v15, vcc
	v_mul_hi_u32 v19, v11, v17
	v_mul_lo_u32 v17, v11, v17
	v_add_co_u32_e32 v16, vcc, v16, v17
	v_mul_hi_u32 v18, v11, v14
	v_addc_co_u32_e32 v15, vcc, v15, v19, vcc
	v_addc_co_u32_e32 v16, vcc, 0, v18, vcc
	v_mul_lo_u32 v14, v11, v14
	v_add_co_u32_e32 v14, vcc, v15, v14
	v_addc_co_u32_e32 v15, vcc, 0, v16, vcc
	v_add_co_u32_e32 v10, vcc, v10, v14
	v_addc_co_u32_e32 v11, vcc, v11, v15, vcc
	v_mul_lo_u32 v14, s0, v11
	v_mul_hi_u32 v15, s0, v10
	v_add_u32_e32 v14, v15, v14
	v_mul_lo_u32 v15, s1, v10
	v_add_u32_e32 v14, v14, v15
	v_mul_lo_u32 v16, s0, v10
	v_mul_hi_u32 v17, v11, v16
	v_mul_lo_u32 v18, v11, v16
	v_mul_lo_u32 v20, v10, v14
	v_mul_hi_u32 v16, v10, v16
	v_mul_hi_u32 v19, v10, v14
	v_add_co_u32_e32 v16, vcc, v16, v20
	v_addc_co_u32_e32 v19, vcc, 0, v19, vcc
	v_add_co_u32_e32 v16, vcc, v16, v18
	v_mul_hi_u32 v15, v11, v14
	v_addc_co_u32_e32 v16, vcc, v19, v17, vcc
	v_addc_co_u32_e32 v15, vcc, 0, v15, vcc
	v_mul_lo_u32 v14, v11, v14
	v_add_co_u32_e32 v14, vcc, v16, v14
	v_addc_co_u32_e32 v15, vcc, 0, v15, vcc
	v_add_co_u32_e32 v14, vcc, v10, v14
	v_addc_co_u32_e32 v15, vcc, v11, v15, vcc
	v_mad_u64_u32 v[10:11], s[0:1], v12, v15, 0
	v_mul_hi_u32 v16, v12, v14
	v_add_co_u32_e32 v16, vcc, v16, v10
	v_addc_co_u32_e32 v17, vcc, 0, v11, vcc
	v_mad_u64_u32 v[10:11], s[0:1], v13, v15, 0
	v_mad_u64_u32 v[14:15], s[0:1], v13, v14, 0
	v_add_co_u32_e32 v14, vcc, v16, v14
	v_addc_co_u32_e32 v14, vcc, v17, v15, vcc
	v_addc_co_u32_e32 v11, vcc, 0, v11, vcc
	v_add_co_u32_e32 v14, vcc, v14, v10
	v_addc_co_u32_e32 v15, vcc, 0, v11, vcc
	v_mul_lo_u32 v16, s17, v14
	v_mul_lo_u32 v17, s16, v15
	v_mad_u64_u32 v[10:11], s[0:1], s16, v14, 0
	v_add3_u32 v11, v11, v17, v16
	v_sub_u32_e32 v16, v13, v11
	v_mov_b32_e32 v17, s17
	v_sub_co_u32_e32 v10, vcc, v12, v10
	v_subb_co_u32_e64 v16, s[0:1], v16, v17, vcc
	v_subrev_co_u32_e64 v17, s[0:1], s16, v10
	v_subbrev_co_u32_e64 v16, s[0:1], 0, v16, s[0:1]
	v_cmp_le_u32_e64 s[0:1], s17, v16
	v_cndmask_b32_e64 v18, 0, -1, s[0:1]
	v_cmp_le_u32_e64 s[0:1], s16, v17
	v_cndmask_b32_e64 v17, 0, -1, s[0:1]
	v_cmp_eq_u32_e64 s[0:1], s17, v16
	v_cndmask_b32_e64 v16, v18, v17, s[0:1]
	v_add_co_u32_e64 v17, s[0:1], 2, v14
	v_addc_co_u32_e64 v18, s[0:1], 0, v15, s[0:1]
	v_add_co_u32_e64 v19, s[0:1], 1, v14
	v_addc_co_u32_e64 v20, s[0:1], 0, v15, s[0:1]
	v_subb_co_u32_e32 v11, vcc, v13, v11, vcc
	v_cmp_ne_u32_e64 s[0:1], 0, v16
	v_cmp_le_u32_e32 vcc, s17, v11
	v_cndmask_b32_e64 v16, v20, v18, s[0:1]
	v_cndmask_b32_e64 v18, 0, -1, vcc
	v_cmp_le_u32_e32 vcc, s16, v10
	v_cndmask_b32_e64 v10, 0, -1, vcc
	v_cmp_eq_u32_e32 vcc, s17, v11
	v_cndmask_b32_e32 v10, v18, v10, vcc
	v_cmp_ne_u32_e32 vcc, 0, v10
	v_cndmask_b32_e64 v10, v19, v17, s[0:1]
	v_cndmask_b32_e32 v11, v15, v16, vcc
	v_cndmask_b32_e32 v10, v14, v10, vcc
.LBB2_65:                               ;   in Loop: Header=BB2_51 Depth=1
	s_andn2_saveexec_b64 s[0:1], s[44:45]
	s_cbranch_execz .LBB2_50
; %bb.66:                               ;   in Loop: Header=BB2_51 Depth=1
	v_cvt_f32_u32_e32 v10, s16
	s_sub_i32 s44, 0, s16
	v_rcp_iflag_f32_e32 v10, v10
	v_mul_f32_e32 v10, 0x4f7ffffe, v10
	v_cvt_u32_f32_e32 v10, v10
	v_mul_lo_u32 v11, s44, v10
	v_mul_hi_u32 v11, v10, v11
	v_add_u32_e32 v10, v10, v11
	v_mul_hi_u32 v10, v12, v10
	v_mul_lo_u32 v11, v10, s16
	v_sub_u32_e32 v11, v12, v11
	v_add_u32_e32 v14, 1, v10
	v_subrev_u32_e32 v15, s16, v11
	v_cmp_le_u32_e32 vcc, s16, v11
	v_cndmask_b32_e32 v11, v11, v15, vcc
	v_cndmask_b32_e32 v10, v10, v14, vcc
	v_add_u32_e32 v14, 1, v10
	v_cmp_le_u32_e32 vcc, s16, v11
	v_cndmask_b32_e32 v10, v10, v14, vcc
	v_mov_b32_e32 v11, 0
	s_branch .LBB2_50
.LBB2_67:                               ;   in Loop: Header=BB2_68 Depth=1
	s_or_b64 exec, exec, s[0:1]
	v_mul_lo_u32 v16, v11, s2
	v_mul_lo_u32 v17, v10, s3
	v_mad_u64_u32 v[14:15], s[0:1], v10, s2, 0
	v_add3_u32 v15, v15, v17, v16
	v_sub_co_u32_e32 v16, vcc, v12, v14
	v_subb_co_u32_e32 v17, vcc, v13, v15, vcc
	v_lshlrev_b64 v[12:13], 2, v[16:17]
	v_mul_lo_u32 v13, v5, s18
	v_mul_lo_u32 v18, v4, s19
	v_mad_u64_u32 v[14:15], s[0:1], v4, s18, 0
	v_add3_u32 v15, v15, v18, v13
	v_mul_lo_u32 v13, v7, s20
	v_mul_lo_u32 v20, v6, s21
	v_mad_u64_u32 v[18:19], s[0:1], v6, s20, 0
	v_add3_u32 v19, v19, v20, v13
	;; [unrolled: 4-line block ×3, first 2 shown]
	v_mul_lo_u32 v13, v11, s24
	v_mul_lo_u32 v24, v10, s25
	v_mad_u64_u32 v[22:23], s[0:1], v10, s24, 0
	v_lshlrev_b64 v[14:15], 2, v[14:15]
	v_add3_u32 v23, v23, v24, v13
	v_mov_b32_e32 v13, s37
	v_add_co_u32_e32 v24, vcc, s36, v14
	v_addc_co_u32_e32 v13, vcc, v13, v15, vcc
	v_lshlrev_b64 v[14:15], 2, v[18:19]
	v_add_co_u32_e32 v18, vcc, v24, v14
	v_addc_co_u32_e32 v13, vcc, v13, v15, vcc
	v_lshlrev_b64 v[14:15], 2, v[20:21]
	;; [unrolled: 3-line block ×3, first 2 shown]
	v_add_co_u32_e32 v14, vcc, v18, v14
	v_addc_co_u32_e32 v15, vcc, v13, v15, vcc
	v_alignbit_b32 v13, v17, v16, 30
	v_mul_lo_u32 v18, v13, s26
	v_mul_lo_u32 v19, v12, s27
	v_mad_u64_u32 v[12:13], s[0:1], v12, s26, 0
	v_add3_u32 v13, v13, v19, v18
	v_lshlrev_b64 v[12:13], 2, v[12:13]
	v_add_co_u32_e32 v12, vcc, v14, v12
	v_addc_co_u32_e32 v13, vcc, v15, v13, vcc
	s_lshl_b64 s[0:1], s[26:27], 2
	v_mov_b32_e32 v20, s1
	v_add_co_u32_e32 v14, vcc, s0, v12
	v_addc_co_u32_e32 v15, vcc, v13, v20, vcc
	v_add_co_u32_e32 v18, vcc, s0, v14
	v_addc_co_u32_e32 v19, vcc, v15, v20, vcc
	global_load_dword v12, v[12:13], off
	s_nop 0
	global_load_dword v13, v[14:15], off
	s_nop 0
	global_load_dword v14, v[18:19], off
	v_add_co_u32_e32 v18, vcc, s0, v18
	v_addc_co_u32_e32 v19, vcc, v19, v20, vcc
	global_load_dword v15, v[18:19], off
	v_mul_lo_u32 v18, v5, s28
	v_mul_lo_u32 v19, v4, s29
	v_mad_u64_u32 v[4:5], s[0:1], v4, s28, 0
	v_add3_u32 v5, v5, v19, v18
	v_mul_lo_u32 v18, v7, s30
	v_mul_lo_u32 v19, v6, s31
	v_mad_u64_u32 v[6:7], s[0:1], v6, s30, 0
	v_add3_u32 v7, v7, v19, v18
	;; [unrolled: 4-line block ×3, first 2 shown]
	v_mul_lo_u32 v18, v11, s42
	v_mul_lo_u32 v19, v10, s43
	v_mad_u64_u32 v[10:11], s[0:1], v10, s42, 0
	v_lshlrev_b64 v[4:5], 2, v[4:5]
	v_add3_u32 v11, v11, v19, v18
	v_mov_b32_e32 v18, s39
	v_add_co_u32_e32 v19, vcc, s38, v4
	v_addc_co_u32_e32 v18, vcc, v18, v5, vcc
	v_lshlrev_b64 v[4:5], 2, v[6:7]
	v_add_co_u32_e32 v6, vcc, v19, v4
	v_addc_co_u32_e32 v7, vcc, v18, v5, vcc
	v_lshlrev_b64 v[4:5], 2, v[8:9]
	;; [unrolled: 3-line block ×4, first 2 shown]
	v_add_co_u32_e32 v4, vcc, v6, v4
	v_addc_co_u32_e32 v5, vcc, v7, v5, vcc
	v_mov_b32_e32 v6, s33
	v_add_co_u32_e32 v2, vcc, s48, v2
	v_addc_co_u32_e32 v3, vcc, v3, v6, vcc
	v_cmp_le_u64_e32 vcc, s[6:7], v[2:3]
	s_or_b64 s[34:35], vcc, s[34:35]
	s_waitcnt vmcnt(0)
	global_store_dwordx4 v[4:5], v[12:15], off
	s_andn2_b64 exec, exec, s[34:35]
	s_cbranch_execz .LBB2_7
.LBB2_68:                               ; =>This Inner Loop Header: Depth=1
	v_or_b32_e32 v5, s53, v3
	v_mov_b32_e32 v4, 0
	v_cmp_ne_u64_e32 vcc, 0, v[4:5]
                                        ; implicit-def: $vgpr4_vgpr5
	s_and_saveexec_b64 s[0:1], vcc
	s_xor_b64 s[46:47], exec, s[0:1]
	s_cbranch_execz .LBB2_70
; %bb.69:                               ;   in Loop: Header=BB2_68 Depth=1
	v_cvt_f32_u32_e32 v4, s54
	v_cvt_f32_u32_e32 v5, s53
	s_sub_u32 s0, 0, s54
	s_subb_u32 s1, 0, s53
	v_madmk_f32 v4, v5, 0x4f800000, v4
	v_rcp_f32_e32 v4, v4
	v_mul_f32_e32 v4, 0x5f7ffffc, v4
	v_mul_f32_e32 v5, 0x2f800000, v4
	v_trunc_f32_e32 v5, v5
	v_madmk_f32 v4, v5, 0xcf800000, v4
	v_cvt_u32_f32_e32 v5, v5
	v_cvt_u32_f32_e32 v4, v4
	v_mul_lo_u32 v6, s0, v5
	v_mul_hi_u32 v8, s0, v4
	v_mul_lo_u32 v7, s1, v4
	v_add_u32_e32 v6, v8, v6
	v_mul_lo_u32 v9, s0, v4
	v_add_u32_e32 v6, v6, v7
	v_mul_hi_u32 v8, v4, v9
	v_mul_lo_u32 v10, v4, v6
	v_mul_hi_u32 v7, v4, v6
	v_add_co_u32_e32 v8, vcc, v8, v10
	v_addc_co_u32_e32 v7, vcc, 0, v7, vcc
	v_mul_hi_u32 v11, v5, v9
	v_mul_lo_u32 v9, v5, v9
	v_add_co_u32_e32 v8, vcc, v8, v9
	v_mul_hi_u32 v10, v5, v6
	v_addc_co_u32_e32 v7, vcc, v7, v11, vcc
	v_addc_co_u32_e32 v8, vcc, 0, v10, vcc
	v_mul_lo_u32 v6, v5, v6
	v_add_co_u32_e32 v6, vcc, v7, v6
	v_addc_co_u32_e32 v7, vcc, 0, v8, vcc
	v_add_co_u32_e32 v4, vcc, v4, v6
	v_addc_co_u32_e32 v5, vcc, v5, v7, vcc
	v_mul_lo_u32 v6, s0, v5
	v_mul_hi_u32 v7, s0, v4
	v_add_u32_e32 v6, v7, v6
	v_mul_lo_u32 v7, s1, v4
	v_add_u32_e32 v6, v6, v7
	v_mul_lo_u32 v8, s0, v4
	v_mul_hi_u32 v9, v5, v8
	v_mul_lo_u32 v10, v5, v8
	v_mul_lo_u32 v12, v4, v6
	v_mul_hi_u32 v8, v4, v8
	v_mul_hi_u32 v11, v4, v6
	v_add_co_u32_e32 v8, vcc, v8, v12
	v_addc_co_u32_e32 v11, vcc, 0, v11, vcc
	v_add_co_u32_e32 v8, vcc, v8, v10
	v_mul_hi_u32 v7, v5, v6
	v_addc_co_u32_e32 v8, vcc, v11, v9, vcc
	v_addc_co_u32_e32 v7, vcc, 0, v7, vcc
	v_mul_lo_u32 v6, v5, v6
	v_add_co_u32_e32 v6, vcc, v8, v6
	v_addc_co_u32_e32 v7, vcc, 0, v7, vcc
	v_add_co_u32_e32 v6, vcc, v4, v6
	v_addc_co_u32_e32 v7, vcc, v5, v7, vcc
	v_mad_u64_u32 v[4:5], s[0:1], v2, v7, 0
	v_mul_hi_u32 v8, v2, v6
	v_add_co_u32_e32 v8, vcc, v8, v4
	v_addc_co_u32_e32 v9, vcc, 0, v5, vcc
	v_mad_u64_u32 v[4:5], s[0:1], v3, v7, 0
	v_mad_u64_u32 v[6:7], s[0:1], v3, v6, 0
	v_add_co_u32_e32 v6, vcc, v8, v6
	v_addc_co_u32_e32 v6, vcc, v9, v7, vcc
	v_addc_co_u32_e32 v5, vcc, 0, v5, vcc
	v_add_co_u32_e32 v6, vcc, v6, v4
	v_addc_co_u32_e32 v7, vcc, 0, v5, vcc
	v_mul_lo_u32 v8, s53, v6
	v_mul_lo_u32 v9, s54, v7
	v_mad_u64_u32 v[4:5], s[0:1], s54, v6, 0
	v_add3_u32 v5, v5, v9, v8
	v_sub_u32_e32 v8, v3, v5
	v_mov_b32_e32 v9, s53
	v_sub_co_u32_e32 v4, vcc, v2, v4
	v_subb_co_u32_e64 v8, s[0:1], v8, v9, vcc
	v_subrev_co_u32_e64 v9, s[0:1], s54, v4
	v_subbrev_co_u32_e64 v8, s[0:1], 0, v8, s[0:1]
	v_cmp_le_u32_e64 s[0:1], s53, v8
	v_cndmask_b32_e64 v10, 0, -1, s[0:1]
	v_cmp_le_u32_e64 s[0:1], s54, v9
	v_cndmask_b32_e64 v9, 0, -1, s[0:1]
	v_cmp_eq_u32_e64 s[0:1], s53, v8
	v_cndmask_b32_e64 v8, v10, v9, s[0:1]
	v_add_co_u32_e64 v9, s[0:1], 2, v6
	v_addc_co_u32_e64 v10, s[0:1], 0, v7, s[0:1]
	v_add_co_u32_e64 v11, s[0:1], 1, v6
	v_addc_co_u32_e64 v12, s[0:1], 0, v7, s[0:1]
	v_subb_co_u32_e32 v5, vcc, v3, v5, vcc
	v_cmp_ne_u32_e64 s[0:1], 0, v8
	v_cmp_le_u32_e32 vcc, s53, v5
	v_cndmask_b32_e64 v8, v12, v10, s[0:1]
	v_cndmask_b32_e64 v10, 0, -1, vcc
	v_cmp_le_u32_e32 vcc, s54, v4
	v_cndmask_b32_e64 v4, 0, -1, vcc
	v_cmp_eq_u32_e32 vcc, s53, v5
	v_cndmask_b32_e32 v4, v10, v4, vcc
	v_cmp_ne_u32_e32 vcc, 0, v4
	v_cndmask_b32_e64 v4, v11, v9, s[0:1]
	v_cndmask_b32_e32 v5, v7, v8, vcc
	v_cndmask_b32_e32 v4, v6, v4, vcc
.LBB2_70:                               ;   in Loop: Header=BB2_68 Depth=1
	s_andn2_saveexec_b64 s[0:1], s[46:47]
	s_cbranch_execz .LBB2_72
; %bb.71:                               ;   in Loop: Header=BB2_68 Depth=1
	v_cvt_f32_u32_e32 v4, s54
	s_sub_i32 s46, 0, s54
	v_rcp_iflag_f32_e32 v4, v4
	v_mul_f32_e32 v4, 0x4f7ffffe, v4
	v_cvt_u32_f32_e32 v4, v4
	v_mul_lo_u32 v5, s46, v4
	v_mul_hi_u32 v5, v4, v5
	v_add_u32_e32 v4, v4, v5
	v_mul_hi_u32 v4, v2, v4
	v_mul_lo_u32 v5, v4, s54
	v_sub_u32_e32 v5, v2, v5
	v_add_u32_e32 v6, 1, v4
	v_subrev_u32_e32 v7, s54, v5
	v_cmp_le_u32_e32 vcc, s54, v5
	v_cndmask_b32_e32 v5, v5, v7, vcc
	v_cndmask_b32_e32 v4, v4, v6, vcc
	v_add_u32_e32 v6, 1, v4
	v_cmp_le_u32_e32 vcc, s54, v5
	v_cndmask_b32_e32 v4, v4, v6, vcc
	v_mov_b32_e32 v5, 0
.LBB2_72:                               ;   in Loop: Header=BB2_68 Depth=1
	s_or_b64 exec, exec, s[0:1]
	v_mul_lo_u32 v8, v5, s54
	v_mul_lo_u32 v9, v4, s53
	v_mad_u64_u32 v[6:7], s[0:1], v4, s54, 0
	v_add3_u32 v7, v7, v9, v8
	v_sub_co_u32_e32 v8, vcc, v2, v6
	v_subb_co_u32_e32 v9, vcc, v3, v7, vcc
	v_or_b32_e32 v7, s51, v9
	v_mov_b32_e32 v6, 0
	v_cmp_ne_u64_e32 vcc, 0, v[6:7]
                                        ; implicit-def: $vgpr6_vgpr7
	s_and_saveexec_b64 s[0:1], vcc
	s_xor_b64 s[46:47], exec, s[0:1]
	s_cbranch_execz .LBB2_74
; %bb.73:                               ;   in Loop: Header=BB2_68 Depth=1
	v_cvt_f32_u32_e32 v6, s52
	v_cvt_f32_u32_e32 v7, s51
	s_sub_u32 s0, 0, s52
	s_subb_u32 s1, 0, s51
	v_madmk_f32 v6, v7, 0x4f800000, v6
	v_rcp_f32_e32 v6, v6
	v_mul_f32_e32 v6, 0x5f7ffffc, v6
	v_mul_f32_e32 v7, 0x2f800000, v6
	v_trunc_f32_e32 v7, v7
	v_madmk_f32 v6, v7, 0xcf800000, v6
	v_cvt_u32_f32_e32 v7, v7
	v_cvt_u32_f32_e32 v6, v6
	v_mul_lo_u32 v10, s0, v7
	v_mul_hi_u32 v12, s0, v6
	v_mul_lo_u32 v11, s1, v6
	v_add_u32_e32 v10, v12, v10
	v_mul_lo_u32 v13, s0, v6
	v_add_u32_e32 v10, v10, v11
	v_mul_hi_u32 v12, v6, v13
	v_mul_lo_u32 v14, v6, v10
	v_mul_hi_u32 v11, v6, v10
	v_add_co_u32_e32 v12, vcc, v12, v14
	v_addc_co_u32_e32 v11, vcc, 0, v11, vcc
	v_mul_hi_u32 v15, v7, v13
	v_mul_lo_u32 v13, v7, v13
	v_add_co_u32_e32 v12, vcc, v12, v13
	v_mul_hi_u32 v14, v7, v10
	v_addc_co_u32_e32 v11, vcc, v11, v15, vcc
	v_addc_co_u32_e32 v12, vcc, 0, v14, vcc
	v_mul_lo_u32 v10, v7, v10
	v_add_co_u32_e32 v10, vcc, v11, v10
	v_addc_co_u32_e32 v11, vcc, 0, v12, vcc
	v_add_co_u32_e32 v6, vcc, v6, v10
	v_addc_co_u32_e32 v7, vcc, v7, v11, vcc
	v_mul_lo_u32 v10, s0, v7
	v_mul_hi_u32 v11, s0, v6
	v_add_u32_e32 v10, v11, v10
	v_mul_lo_u32 v11, s1, v6
	v_add_u32_e32 v10, v10, v11
	v_mul_lo_u32 v12, s0, v6
	v_mul_hi_u32 v13, v7, v12
	v_mul_lo_u32 v14, v7, v12
	v_mul_lo_u32 v16, v6, v10
	v_mul_hi_u32 v12, v6, v12
	v_mul_hi_u32 v15, v6, v10
	v_add_co_u32_e32 v12, vcc, v12, v16
	v_addc_co_u32_e32 v15, vcc, 0, v15, vcc
	v_add_co_u32_e32 v12, vcc, v12, v14
	v_mul_hi_u32 v11, v7, v10
	v_addc_co_u32_e32 v12, vcc, v15, v13, vcc
	v_addc_co_u32_e32 v11, vcc, 0, v11, vcc
	v_mul_lo_u32 v10, v7, v10
	v_add_co_u32_e32 v10, vcc, v12, v10
	v_addc_co_u32_e32 v11, vcc, 0, v11, vcc
	v_add_co_u32_e32 v10, vcc, v6, v10
	v_addc_co_u32_e32 v11, vcc, v7, v11, vcc
	v_mad_u64_u32 v[6:7], s[0:1], v8, v11, 0
	v_mul_hi_u32 v12, v8, v10
	v_add_co_u32_e32 v12, vcc, v12, v6
	v_addc_co_u32_e32 v13, vcc, 0, v7, vcc
	v_mad_u64_u32 v[6:7], s[0:1], v9, v11, 0
	v_mad_u64_u32 v[10:11], s[0:1], v9, v10, 0
	v_add_co_u32_e32 v10, vcc, v12, v10
	v_addc_co_u32_e32 v10, vcc, v13, v11, vcc
	v_addc_co_u32_e32 v7, vcc, 0, v7, vcc
	v_add_co_u32_e32 v10, vcc, v10, v6
	v_addc_co_u32_e32 v11, vcc, 0, v7, vcc
	v_mul_lo_u32 v12, s51, v10
	v_mul_lo_u32 v13, s52, v11
	v_mad_u64_u32 v[6:7], s[0:1], s52, v10, 0
	v_add3_u32 v7, v7, v13, v12
	v_sub_u32_e32 v12, v9, v7
	v_mov_b32_e32 v13, s51
	v_sub_co_u32_e32 v6, vcc, v8, v6
	v_subb_co_u32_e64 v12, s[0:1], v12, v13, vcc
	v_subrev_co_u32_e64 v13, s[0:1], s52, v6
	v_subbrev_co_u32_e64 v12, s[0:1], 0, v12, s[0:1]
	v_cmp_le_u32_e64 s[0:1], s51, v12
	v_cndmask_b32_e64 v14, 0, -1, s[0:1]
	v_cmp_le_u32_e64 s[0:1], s52, v13
	v_cndmask_b32_e64 v13, 0, -1, s[0:1]
	v_cmp_eq_u32_e64 s[0:1], s51, v12
	v_cndmask_b32_e64 v12, v14, v13, s[0:1]
	v_add_co_u32_e64 v13, s[0:1], 2, v10
	v_addc_co_u32_e64 v14, s[0:1], 0, v11, s[0:1]
	v_add_co_u32_e64 v15, s[0:1], 1, v10
	v_addc_co_u32_e64 v16, s[0:1], 0, v11, s[0:1]
	v_subb_co_u32_e32 v7, vcc, v9, v7, vcc
	v_cmp_ne_u32_e64 s[0:1], 0, v12
	v_cmp_le_u32_e32 vcc, s51, v7
	v_cndmask_b32_e64 v12, v16, v14, s[0:1]
	v_cndmask_b32_e64 v14, 0, -1, vcc
	v_cmp_le_u32_e32 vcc, s52, v6
	v_cndmask_b32_e64 v6, 0, -1, vcc
	v_cmp_eq_u32_e32 vcc, s51, v7
	v_cndmask_b32_e32 v6, v14, v6, vcc
	v_cmp_ne_u32_e32 vcc, 0, v6
	v_cndmask_b32_e64 v6, v15, v13, s[0:1]
	v_cndmask_b32_e32 v7, v11, v12, vcc
	v_cndmask_b32_e32 v6, v10, v6, vcc
.LBB2_74:                               ;   in Loop: Header=BB2_68 Depth=1
	s_andn2_saveexec_b64 s[0:1], s[46:47]
	s_cbranch_execz .LBB2_76
; %bb.75:                               ;   in Loop: Header=BB2_68 Depth=1
	v_cvt_f32_u32_e32 v6, s52
	s_sub_i32 s46, 0, s52
	v_rcp_iflag_f32_e32 v6, v6
	v_mul_f32_e32 v6, 0x4f7ffffe, v6
	v_cvt_u32_f32_e32 v6, v6
	v_mul_lo_u32 v7, s46, v6
	v_mul_hi_u32 v7, v6, v7
	v_add_u32_e32 v6, v6, v7
	v_mul_hi_u32 v6, v8, v6
	v_mul_lo_u32 v7, v6, s52
	v_sub_u32_e32 v7, v8, v7
	v_add_u32_e32 v10, 1, v6
	v_subrev_u32_e32 v11, s52, v7
	v_cmp_le_u32_e32 vcc, s52, v7
	v_cndmask_b32_e32 v7, v7, v11, vcc
	v_cndmask_b32_e32 v6, v6, v10, vcc
	v_add_u32_e32 v10, 1, v6
	v_cmp_le_u32_e32 vcc, s52, v7
	v_cndmask_b32_e32 v6, v6, v10, vcc
	v_mov_b32_e32 v7, 0
.LBB2_76:                               ;   in Loop: Header=BB2_68 Depth=1
	s_or_b64 exec, exec, s[0:1]
	v_mul_lo_u32 v12, v7, s52
	v_mul_lo_u32 v13, v6, s51
	v_mad_u64_u32 v[10:11], s[0:1], v6, s52, 0
	v_add3_u32 v11, v11, v13, v12
	v_sub_co_u32_e32 v10, vcc, v8, v10
	v_subb_co_u32_e32 v11, vcc, v9, v11, vcc
	v_or_b32_e32 v9, s49, v11
	v_mov_b32_e32 v8, 0
	v_cmp_ne_u64_e32 vcc, 0, v[8:9]
                                        ; implicit-def: $vgpr8_vgpr9
	s_and_saveexec_b64 s[0:1], vcc
	s_xor_b64 s[46:47], exec, s[0:1]
	s_cbranch_execz .LBB2_78
; %bb.77:                               ;   in Loop: Header=BB2_68 Depth=1
	v_cvt_f32_u32_e32 v8, s50
	v_cvt_f32_u32_e32 v9, s49
	s_sub_u32 s0, 0, s50
	s_subb_u32 s1, 0, s49
	v_madmk_f32 v8, v9, 0x4f800000, v8
	v_rcp_f32_e32 v8, v8
	v_mul_f32_e32 v8, 0x5f7ffffc, v8
	v_mul_f32_e32 v9, 0x2f800000, v8
	v_trunc_f32_e32 v9, v9
	v_madmk_f32 v8, v9, 0xcf800000, v8
	v_cvt_u32_f32_e32 v9, v9
	v_cvt_u32_f32_e32 v8, v8
	v_mul_lo_u32 v12, s0, v9
	v_mul_hi_u32 v14, s0, v8
	v_mul_lo_u32 v13, s1, v8
	v_add_u32_e32 v12, v14, v12
	v_mul_lo_u32 v15, s0, v8
	v_add_u32_e32 v12, v12, v13
	v_mul_hi_u32 v14, v8, v15
	v_mul_lo_u32 v16, v8, v12
	v_mul_hi_u32 v13, v8, v12
	v_add_co_u32_e32 v14, vcc, v14, v16
	v_addc_co_u32_e32 v13, vcc, 0, v13, vcc
	v_mul_hi_u32 v17, v9, v15
	v_mul_lo_u32 v15, v9, v15
	v_add_co_u32_e32 v14, vcc, v14, v15
	v_mul_hi_u32 v16, v9, v12
	v_addc_co_u32_e32 v13, vcc, v13, v17, vcc
	v_addc_co_u32_e32 v14, vcc, 0, v16, vcc
	v_mul_lo_u32 v12, v9, v12
	v_add_co_u32_e32 v12, vcc, v13, v12
	v_addc_co_u32_e32 v13, vcc, 0, v14, vcc
	v_add_co_u32_e32 v8, vcc, v8, v12
	v_addc_co_u32_e32 v9, vcc, v9, v13, vcc
	v_mul_lo_u32 v12, s0, v9
	v_mul_hi_u32 v13, s0, v8
	v_add_u32_e32 v12, v13, v12
	v_mul_lo_u32 v13, s1, v8
	v_add_u32_e32 v12, v12, v13
	v_mul_lo_u32 v14, s0, v8
	v_mul_hi_u32 v15, v9, v14
	v_mul_lo_u32 v16, v9, v14
	v_mul_lo_u32 v18, v8, v12
	v_mul_hi_u32 v14, v8, v14
	v_mul_hi_u32 v17, v8, v12
	v_add_co_u32_e32 v14, vcc, v14, v18
	v_addc_co_u32_e32 v17, vcc, 0, v17, vcc
	v_add_co_u32_e32 v14, vcc, v14, v16
	v_mul_hi_u32 v13, v9, v12
	v_addc_co_u32_e32 v14, vcc, v17, v15, vcc
	v_addc_co_u32_e32 v13, vcc, 0, v13, vcc
	v_mul_lo_u32 v12, v9, v12
	v_add_co_u32_e32 v12, vcc, v14, v12
	v_addc_co_u32_e32 v13, vcc, 0, v13, vcc
	v_add_co_u32_e32 v12, vcc, v8, v12
	v_addc_co_u32_e32 v13, vcc, v9, v13, vcc
	v_mad_u64_u32 v[8:9], s[0:1], v10, v13, 0
	v_mul_hi_u32 v14, v10, v12
	v_add_co_u32_e32 v14, vcc, v14, v8
	v_addc_co_u32_e32 v15, vcc, 0, v9, vcc
	v_mad_u64_u32 v[8:9], s[0:1], v11, v13, 0
	v_mad_u64_u32 v[12:13], s[0:1], v11, v12, 0
	v_add_co_u32_e32 v12, vcc, v14, v12
	v_addc_co_u32_e32 v12, vcc, v15, v13, vcc
	v_addc_co_u32_e32 v9, vcc, 0, v9, vcc
	v_add_co_u32_e32 v12, vcc, v12, v8
	v_addc_co_u32_e32 v13, vcc, 0, v9, vcc
	v_mul_lo_u32 v14, s49, v12
	v_mul_lo_u32 v15, s50, v13
	v_mad_u64_u32 v[8:9], s[0:1], s50, v12, 0
	v_add3_u32 v9, v9, v15, v14
	v_sub_u32_e32 v14, v11, v9
	v_mov_b32_e32 v15, s49
	v_sub_co_u32_e32 v8, vcc, v10, v8
	v_subb_co_u32_e64 v14, s[0:1], v14, v15, vcc
	v_subrev_co_u32_e64 v15, s[0:1], s50, v8
	v_subbrev_co_u32_e64 v14, s[0:1], 0, v14, s[0:1]
	v_cmp_le_u32_e64 s[0:1], s49, v14
	v_cndmask_b32_e64 v16, 0, -1, s[0:1]
	v_cmp_le_u32_e64 s[0:1], s50, v15
	v_cndmask_b32_e64 v15, 0, -1, s[0:1]
	v_cmp_eq_u32_e64 s[0:1], s49, v14
	v_cndmask_b32_e64 v14, v16, v15, s[0:1]
	v_add_co_u32_e64 v15, s[0:1], 2, v12
	v_addc_co_u32_e64 v16, s[0:1], 0, v13, s[0:1]
	v_add_co_u32_e64 v17, s[0:1], 1, v12
	v_addc_co_u32_e64 v18, s[0:1], 0, v13, s[0:1]
	v_subb_co_u32_e32 v9, vcc, v11, v9, vcc
	v_cmp_ne_u32_e64 s[0:1], 0, v14
	v_cmp_le_u32_e32 vcc, s49, v9
	v_cndmask_b32_e64 v14, v18, v16, s[0:1]
	v_cndmask_b32_e64 v16, 0, -1, vcc
	v_cmp_le_u32_e32 vcc, s50, v8
	v_cndmask_b32_e64 v8, 0, -1, vcc
	v_cmp_eq_u32_e32 vcc, s49, v9
	v_cndmask_b32_e32 v8, v16, v8, vcc
	v_cmp_ne_u32_e32 vcc, 0, v8
	v_cndmask_b32_e64 v8, v17, v15, s[0:1]
	v_cndmask_b32_e32 v9, v13, v14, vcc
	v_cndmask_b32_e32 v8, v12, v8, vcc
.LBB2_78:                               ;   in Loop: Header=BB2_68 Depth=1
	s_andn2_saveexec_b64 s[0:1], s[46:47]
	s_cbranch_execz .LBB2_80
; %bb.79:                               ;   in Loop: Header=BB2_68 Depth=1
	v_cvt_f32_u32_e32 v8, s50
	s_sub_i32 s46, 0, s50
	v_rcp_iflag_f32_e32 v8, v8
	v_mul_f32_e32 v8, 0x4f7ffffe, v8
	v_cvt_u32_f32_e32 v8, v8
	v_mul_lo_u32 v9, s46, v8
	v_mul_hi_u32 v9, v8, v9
	v_add_u32_e32 v8, v8, v9
	v_mul_hi_u32 v8, v10, v8
	v_mul_lo_u32 v9, v8, s50
	v_sub_u32_e32 v9, v10, v9
	v_add_u32_e32 v12, 1, v8
	v_subrev_u32_e32 v13, s50, v9
	v_cmp_le_u32_e32 vcc, s50, v9
	v_cndmask_b32_e32 v9, v9, v13, vcc
	v_cndmask_b32_e32 v8, v8, v12, vcc
	v_add_u32_e32 v12, 1, v8
	v_cmp_le_u32_e32 vcc, s50, v9
	v_cndmask_b32_e32 v8, v8, v12, vcc
	v_mov_b32_e32 v9, 0
.LBB2_80:                               ;   in Loop: Header=BB2_68 Depth=1
	s_or_b64 exec, exec, s[0:1]
	v_mul_lo_u32 v14, v9, s50
	v_mul_lo_u32 v15, v8, s49
	v_mad_u64_u32 v[12:13], s[0:1], v8, s50, 0
	v_add3_u32 v13, v13, v15, v14
	v_sub_co_u32_e32 v12, vcc, v10, v12
	v_subb_co_u32_e32 v13, vcc, v11, v13, vcc
	v_or_b32_e32 v11, s3, v13
	v_mov_b32_e32 v10, 0
	v_cmp_ne_u64_e32 vcc, 0, v[10:11]
                                        ; implicit-def: $vgpr10_vgpr11
	s_and_saveexec_b64 s[0:1], vcc
	s_xor_b64 s[46:47], exec, s[0:1]
	s_cbranch_execz .LBB2_82
; %bb.81:                               ;   in Loop: Header=BB2_68 Depth=1
	v_cvt_f32_u32_e32 v10, s2
	v_cvt_f32_u32_e32 v11, s3
	s_sub_u32 s0, 0, s2
	s_subb_u32 s1, 0, s3
	v_madmk_f32 v10, v11, 0x4f800000, v10
	v_rcp_f32_e32 v10, v10
	v_mul_f32_e32 v10, 0x5f7ffffc, v10
	v_mul_f32_e32 v11, 0x2f800000, v10
	v_trunc_f32_e32 v11, v11
	v_madmk_f32 v10, v11, 0xcf800000, v10
	v_cvt_u32_f32_e32 v11, v11
	v_cvt_u32_f32_e32 v10, v10
	v_mul_lo_u32 v14, s0, v11
	v_mul_hi_u32 v16, s0, v10
	v_mul_lo_u32 v15, s1, v10
	v_add_u32_e32 v14, v16, v14
	v_mul_lo_u32 v17, s0, v10
	v_add_u32_e32 v14, v14, v15
	v_mul_hi_u32 v16, v10, v17
	v_mul_lo_u32 v18, v10, v14
	v_mul_hi_u32 v15, v10, v14
	v_add_co_u32_e32 v16, vcc, v16, v18
	v_addc_co_u32_e32 v15, vcc, 0, v15, vcc
	v_mul_hi_u32 v19, v11, v17
	v_mul_lo_u32 v17, v11, v17
	v_add_co_u32_e32 v16, vcc, v16, v17
	v_mul_hi_u32 v18, v11, v14
	v_addc_co_u32_e32 v15, vcc, v15, v19, vcc
	v_addc_co_u32_e32 v16, vcc, 0, v18, vcc
	v_mul_lo_u32 v14, v11, v14
	v_add_co_u32_e32 v14, vcc, v15, v14
	v_addc_co_u32_e32 v15, vcc, 0, v16, vcc
	v_add_co_u32_e32 v10, vcc, v10, v14
	v_addc_co_u32_e32 v11, vcc, v11, v15, vcc
	v_mul_lo_u32 v14, s0, v11
	v_mul_hi_u32 v15, s0, v10
	v_add_u32_e32 v14, v15, v14
	v_mul_lo_u32 v15, s1, v10
	v_add_u32_e32 v14, v14, v15
	v_mul_lo_u32 v16, s0, v10
	v_mul_hi_u32 v17, v11, v16
	v_mul_lo_u32 v18, v11, v16
	v_mul_lo_u32 v20, v10, v14
	v_mul_hi_u32 v16, v10, v16
	v_mul_hi_u32 v19, v10, v14
	v_add_co_u32_e32 v16, vcc, v16, v20
	v_addc_co_u32_e32 v19, vcc, 0, v19, vcc
	v_add_co_u32_e32 v16, vcc, v16, v18
	v_mul_hi_u32 v15, v11, v14
	v_addc_co_u32_e32 v16, vcc, v19, v17, vcc
	v_addc_co_u32_e32 v15, vcc, 0, v15, vcc
	v_mul_lo_u32 v14, v11, v14
	v_add_co_u32_e32 v14, vcc, v16, v14
	v_addc_co_u32_e32 v15, vcc, 0, v15, vcc
	v_add_co_u32_e32 v14, vcc, v10, v14
	v_addc_co_u32_e32 v15, vcc, v11, v15, vcc
	v_mad_u64_u32 v[10:11], s[0:1], v12, v15, 0
	v_mul_hi_u32 v16, v12, v14
	v_add_co_u32_e32 v16, vcc, v16, v10
	v_addc_co_u32_e32 v17, vcc, 0, v11, vcc
	v_mad_u64_u32 v[10:11], s[0:1], v13, v15, 0
	v_mad_u64_u32 v[14:15], s[0:1], v13, v14, 0
	v_add_co_u32_e32 v14, vcc, v16, v14
	v_addc_co_u32_e32 v14, vcc, v17, v15, vcc
	v_addc_co_u32_e32 v11, vcc, 0, v11, vcc
	v_add_co_u32_e32 v14, vcc, v14, v10
	v_addc_co_u32_e32 v15, vcc, 0, v11, vcc
	v_mul_lo_u32 v16, s3, v14
	v_mul_lo_u32 v17, s2, v15
	v_mad_u64_u32 v[10:11], s[0:1], s2, v14, 0
	v_add3_u32 v11, v11, v17, v16
	v_sub_u32_e32 v16, v13, v11
	v_mov_b32_e32 v17, s3
	v_sub_co_u32_e32 v10, vcc, v12, v10
	v_subb_co_u32_e64 v16, s[0:1], v16, v17, vcc
	v_subrev_co_u32_e64 v17, s[0:1], s2, v10
	v_subbrev_co_u32_e64 v16, s[0:1], 0, v16, s[0:1]
	v_cmp_le_u32_e64 s[0:1], s3, v16
	v_cndmask_b32_e64 v18, 0, -1, s[0:1]
	v_cmp_le_u32_e64 s[0:1], s2, v17
	v_cndmask_b32_e64 v17, 0, -1, s[0:1]
	v_cmp_eq_u32_e64 s[0:1], s3, v16
	v_cndmask_b32_e64 v16, v18, v17, s[0:1]
	v_add_co_u32_e64 v17, s[0:1], 2, v14
	v_addc_co_u32_e64 v18, s[0:1], 0, v15, s[0:1]
	v_add_co_u32_e64 v19, s[0:1], 1, v14
	v_addc_co_u32_e64 v20, s[0:1], 0, v15, s[0:1]
	v_subb_co_u32_e32 v11, vcc, v13, v11, vcc
	v_cmp_ne_u32_e64 s[0:1], 0, v16
	v_cmp_le_u32_e32 vcc, s3, v11
	v_cndmask_b32_e64 v16, v20, v18, s[0:1]
	v_cndmask_b32_e64 v18, 0, -1, vcc
	v_cmp_le_u32_e32 vcc, s2, v10
	v_cndmask_b32_e64 v10, 0, -1, vcc
	v_cmp_eq_u32_e32 vcc, s3, v11
	v_cndmask_b32_e32 v10, v18, v10, vcc
	v_cmp_ne_u32_e32 vcc, 0, v10
	v_cndmask_b32_e64 v10, v19, v17, s[0:1]
	v_cndmask_b32_e32 v11, v15, v16, vcc
	v_cndmask_b32_e32 v10, v14, v10, vcc
.LBB2_82:                               ;   in Loop: Header=BB2_68 Depth=1
	s_andn2_saveexec_b64 s[0:1], s[46:47]
	s_cbranch_execz .LBB2_67
; %bb.83:                               ;   in Loop: Header=BB2_68 Depth=1
	v_mov_b32_e32 v10, s16
	v_alignbit_b32 v10, s17, v10, 2
	v_cvt_f32_u32_e32 v11, v10
	v_sub_u32_e32 v14, 0, v10
	v_rcp_iflag_f32_e32 v11, v11
	v_mul_f32_e32 v11, 0x4f7ffffe, v11
	v_cvt_u32_f32_e32 v11, v11
	v_mul_lo_u32 v14, v14, v11
	v_mul_hi_u32 v14, v11, v14
	v_add_u32_e32 v11, v11, v14
	v_mul_hi_u32 v11, v12, v11
	v_mul_lo_u32 v14, v11, v10
	v_sub_u32_e32 v14, v12, v14
	v_add_u32_e32 v15, 1, v11
	v_sub_u32_e32 v16, v14, v10
	v_cmp_ge_u32_e32 vcc, v14, v10
	v_cndmask_b32_e32 v14, v14, v16, vcc
	v_cndmask_b32_e32 v11, v11, v15, vcc
	v_add_u32_e32 v15, 1, v11
	v_cmp_ge_u32_e32 vcc, v14, v10
	v_cndmask_b32_e32 v10, v11, v15, vcc
	v_mov_b32_e32 v11, 0
	s_branch .LBB2_67
	.section	.rodata,"a",@progbits
	.p2align	6, 0x0
	.amdhsa_kernel VectorizedTranspose
		.amdhsa_group_segment_fixed_size 0
		.amdhsa_private_segment_fixed_size 0
		.amdhsa_kernarg_size 400
		.amdhsa_user_sgpr_count 6
		.amdhsa_user_sgpr_private_segment_buffer 1
		.amdhsa_user_sgpr_dispatch_ptr 0
		.amdhsa_user_sgpr_queue_ptr 0
		.amdhsa_user_sgpr_kernarg_segment_ptr 1
		.amdhsa_user_sgpr_dispatch_id 0
		.amdhsa_user_sgpr_flat_scratch_init 0
		.amdhsa_user_sgpr_kernarg_preload_length 0
		.amdhsa_user_sgpr_kernarg_preload_offset 0
		.amdhsa_user_sgpr_private_segment_size 0
		.amdhsa_uses_dynamic_stack 0
		.amdhsa_system_sgpr_private_segment_wavefront_offset 0
		.amdhsa_system_sgpr_workgroup_id_x 1
		.amdhsa_system_sgpr_workgroup_id_y 0
		.amdhsa_system_sgpr_workgroup_id_z 0
		.amdhsa_system_sgpr_workgroup_info 0
		.amdhsa_system_vgpr_workitem_id 0
		.amdhsa_next_free_vgpr 26
		.amdhsa_next_free_sgpr 55
		.amdhsa_accum_offset 28
		.amdhsa_reserve_vcc 1
		.amdhsa_reserve_flat_scratch 0
		.amdhsa_float_round_mode_32 0
		.amdhsa_float_round_mode_16_64 0
		.amdhsa_float_denorm_mode_32 3
		.amdhsa_float_denorm_mode_16_64 3
		.amdhsa_dx10_clamp 1
		.amdhsa_ieee_mode 1
		.amdhsa_fp16_overflow 0
		.amdhsa_tg_split 0
		.amdhsa_exception_fp_ieee_invalid_op 0
		.amdhsa_exception_fp_denorm_src 0
		.amdhsa_exception_fp_ieee_div_zero 0
		.amdhsa_exception_fp_ieee_overflow 0
		.amdhsa_exception_fp_ieee_underflow 0
		.amdhsa_exception_fp_ieee_inexact 0
		.amdhsa_exception_int_div_zero 0
	.end_amdhsa_kernel
	.text
.Lfunc_end2:
	.size	VectorizedTranspose, .Lfunc_end2-VectorizedTranspose
                                        ; -- End function
	.section	.AMDGPU.csdata,"",@progbits
; Kernel info:
; codeLenInByte = 15644
; NumSgprs: 59
; NumVgprs: 26
; NumAgprs: 0
; TotalNumVgprs: 26
; ScratchSize: 0
; MemoryBound: 0
; FloatMode: 240
; IeeeMode: 1
; LDSByteSize: 0 bytes/workgroup (compile time only)
; SGPRBlocks: 7
; VGPRBlocks: 3
; NumSGPRsForWavesPerEU: 59
; NumVGPRsForWavesPerEU: 26
; AccumOffset: 28
; Occupancy: 8
; WaveLimiterHint : 0
; COMPUTE_PGM_RSRC2:SCRATCH_EN: 0
; COMPUTE_PGM_RSRC2:USER_SGPR: 6
; COMPUTE_PGM_RSRC2:TRAP_HANDLER: 0
; COMPUTE_PGM_RSRC2:TGID_X_EN: 1
; COMPUTE_PGM_RSRC2:TGID_Y_EN: 0
; COMPUTE_PGM_RSRC2:TGID_Z_EN: 0
; COMPUTE_PGM_RSRC2:TIDIG_COMP_CNT: 0
; COMPUTE_PGM_RSRC3_GFX90A:ACCUM_OFFSET: 6
; COMPUTE_PGM_RSRC3_GFX90A:TG_SPLIT: 0
	.text
	.p2alignl 6, 3212836864
	.fill 256, 4, 3212836864
	.type	__hip_cuid_ef66686796ac84d,@object ; @__hip_cuid_ef66686796ac84d
	.section	.bss,"aw",@nobits
	.globl	__hip_cuid_ef66686796ac84d
__hip_cuid_ef66686796ac84d:
	.byte	0                               ; 0x0
	.size	__hip_cuid_ef66686796ac84d, 1

	.ident	"AMD clang version 19.0.0git (https://github.com/RadeonOpenCompute/llvm-project roc-6.4.0 25133 c7fe45cf4b819c5991fe208aaa96edf142730f1d)"
	.section	".note.GNU-stack","",@progbits
	.addrsig
	.addrsig_sym __hip_cuid_ef66686796ac84d
	.amdgpu_metadata
---
amdhsa.kernels:
  - .agpr_count:     0
    .args:
      - .actual_access:  read_only
        .address_space:  global
        .offset:         0
        .size:           8
        .value_kind:     global_buffer
      - .actual_access:  write_only
        .address_space:  global
        .offset:         8
        .size:           8
        .value_kind:     global_buffer
      - .offset:         16
        .size:           8
        .value_kind:     by_value
      - .offset:         24
        .size:           8
        .value_kind:     by_value
      - .offset:         32
        .size:           8
        .value_kind:     by_value
      - .offset:         40
        .size:           8
        .value_kind:     by_value
      - .offset:         48
        .size:           8
        .value_kind:     by_value
      - .offset:         56
        .size:           8
        .value_kind:     by_value
      - .offset:         64
        .size:           8
        .value_kind:     by_value
      - .offset:         72
        .size:           8
        .value_kind:     by_value
      - .offset:         80
        .size:           8
        .value_kind:     by_value
      - .offset:         88
        .size:           8
        .value_kind:     by_value
      - .offset:         96
        .size:           8
        .value_kind:     by_value
      - .offset:         104
        .size:           8
        .value_kind:     by_value
      - .offset:         112
        .size:           8
        .value_kind:     by_value
      - .offset:         120
        .size:           8
        .value_kind:     by_value
      - .offset:         128
        .size:           8
        .value_kind:     by_value
      - .offset:         136
        .size:           4
        .value_kind:     hidden_block_count_x
      - .offset:         140
        .size:           4
        .value_kind:     hidden_block_count_y
      - .offset:         144
        .size:           4
        .value_kind:     hidden_block_count_z
      - .offset:         148
        .size:           2
        .value_kind:     hidden_group_size_x
      - .offset:         150
        .size:           2
        .value_kind:     hidden_group_size_y
      - .offset:         152
        .size:           2
        .value_kind:     hidden_group_size_z
      - .offset:         154
        .size:           2
        .value_kind:     hidden_remainder_x
      - .offset:         156
        .size:           2
        .value_kind:     hidden_remainder_y
      - .offset:         158
        .size:           2
        .value_kind:     hidden_remainder_z
      - .offset:         176
        .size:           8
        .value_kind:     hidden_global_offset_x
      - .offset:         184
        .size:           8
        .value_kind:     hidden_global_offset_y
      - .offset:         192
        .size:           8
        .value_kind:     hidden_global_offset_z
      - .offset:         200
        .size:           2
        .value_kind:     hidden_grid_dims
    .group_segment_fixed_size: 0
    .kernarg_segment_align: 8
    .kernarg_segment_size: 392
    .language:       OpenCL C
    .language_version:
      - 2
      - 0
    .max_flat_workgroup_size: 256
    .name:           UniversalTranspose
    .private_segment_fixed_size: 0
    .sgpr_count:     52
    .sgpr_spill_count: 0
    .symbol:         UniversalTranspose.kd
    .uniform_work_group_size: 1
    .uses_dynamic_stack: false
    .vgpr_count:     25
    .vgpr_spill_count: 0
    .wavefront_size: 64
  - .agpr_count:     0
    .args:
      - .actual_access:  read_only
        .address_space:  global
        .offset:         0
        .size:           8
        .value_kind:     global_buffer
      - .actual_access:  write_only
        .address_space:  global
        .offset:         8
        .size:           8
        .value_kind:     global_buffer
      - .offset:         16
        .size:           8
        .value_kind:     by_value
      - .offset:         24
        .size:           8
        .value_kind:     by_value
      - .offset:         32
        .size:           8
        .value_kind:     by_value
      - .offset:         40
        .size:           8
        .value_kind:     by_value
      - .offset:         48
        .size:           8
        .value_kind:     by_value
      - .offset:         56
        .size:           8
        .value_kind:     by_value
      - .offset:         64
        .size:           8
        .value_kind:     by_value
      - .offset:         72
        .size:           8
        .value_kind:     by_value
      - .offset:         80
        .size:           8
        .value_kind:     by_value
      - .offset:         88
        .size:           8
        .value_kind:     by_value
      - .offset:         96
        .size:           8
        .value_kind:     by_value
      - .offset:         104
        .size:           8
        .value_kind:     by_value
      - .offset:         112
        .size:           8
        .value_kind:     by_value
      - .offset:         120
        .size:           8
        .value_kind:     by_value
      - .offset:         128
        .size:           8
        .value_kind:     by_value
      - .offset:         136
        .size:           4
        .value_kind:     hidden_block_count_x
      - .offset:         140
        .size:           4
        .value_kind:     hidden_block_count_y
      - .offset:         144
        .size:           4
        .value_kind:     hidden_block_count_z
      - .offset:         148
        .size:           2
        .value_kind:     hidden_group_size_x
      - .offset:         150
        .size:           2
        .value_kind:     hidden_group_size_y
      - .offset:         152
        .size:           2
        .value_kind:     hidden_group_size_z
      - .offset:         154
        .size:           2
        .value_kind:     hidden_remainder_x
      - .offset:         156
        .size:           2
        .value_kind:     hidden_remainder_y
      - .offset:         158
        .size:           2
        .value_kind:     hidden_remainder_z
      - .offset:         176
        .size:           8
        .value_kind:     hidden_global_offset_x
      - .offset:         184
        .size:           8
        .value_kind:     hidden_global_offset_y
      - .offset:         192
        .size:           8
        .value_kind:     hidden_global_offset_z
      - .offset:         200
        .size:           2
        .value_kind:     hidden_grid_dims
    .group_segment_fixed_size: 1088
    .kernarg_segment_align: 8
    .kernarg_segment_size: 392
    .language:       OpenCL C
    .language_version:
      - 2
      - 0
    .max_flat_workgroup_size: 256
    .name:           TiledTranspose
    .private_segment_fixed_size: 0
    .sgpr_count:     66
    .sgpr_spill_count: 0
    .symbol:         TiledTranspose.kd
    .uniform_work_group_size: 1
    .uses_dynamic_stack: false
    .vgpr_count:     33
    .vgpr_spill_count: 0
    .wavefront_size: 64
  - .agpr_count:     0
    .args:
      - .address_space:  global
        .offset:         0
        .size:           8
        .value_kind:     global_buffer
      - .address_space:  global
        .offset:         8
        .size:           8
        .value_kind:     global_buffer
      - .offset:         16
        .size:           8
        .value_kind:     by_value
      - .offset:         24
        .size:           8
        .value_kind:     by_value
      - .offset:         32
        .size:           8
        .value_kind:     by_value
      - .offset:         40
        .size:           8
        .value_kind:     by_value
      - .offset:         48
        .size:           8
        .value_kind:     by_value
      - .offset:         56
        .size:           8
        .value_kind:     by_value
      - .offset:         64
        .size:           8
        .value_kind:     by_value
      - .offset:         72
        .size:           8
        .value_kind:     by_value
      - .offset:         80
        .size:           8
        .value_kind:     by_value
      - .offset:         88
        .size:           8
        .value_kind:     by_value
      - .offset:         96
        .size:           8
        .value_kind:     by_value
      - .offset:         104
        .size:           8
        .value_kind:     by_value
      - .offset:         112
        .size:           8
        .value_kind:     by_value
      - .offset:         120
        .size:           8
        .value_kind:     by_value
      - .offset:         128
        .size:           8
        .value_kind:     by_value
      - .offset:         136
        .size:           1
        .value_kind:     by_value
      - .offset:         137
        .size:           1
        .value_kind:     by_value
      - .offset:         144
        .size:           4
        .value_kind:     hidden_block_count_x
      - .offset:         148
        .size:           4
        .value_kind:     hidden_block_count_y
      - .offset:         152
        .size:           4
        .value_kind:     hidden_block_count_z
      - .offset:         156
        .size:           2
        .value_kind:     hidden_group_size_x
      - .offset:         158
        .size:           2
        .value_kind:     hidden_group_size_y
      - .offset:         160
        .size:           2
        .value_kind:     hidden_group_size_z
      - .offset:         162
        .size:           2
        .value_kind:     hidden_remainder_x
      - .offset:         164
        .size:           2
        .value_kind:     hidden_remainder_y
      - .offset:         166
        .size:           2
        .value_kind:     hidden_remainder_z
      - .offset:         184
        .size:           8
        .value_kind:     hidden_global_offset_x
      - .offset:         192
        .size:           8
        .value_kind:     hidden_global_offset_y
      - .offset:         200
        .size:           8
        .value_kind:     hidden_global_offset_z
      - .offset:         208
        .size:           2
        .value_kind:     hidden_grid_dims
    .group_segment_fixed_size: 0
    .kernarg_segment_align: 8
    .kernarg_segment_size: 400
    .language:       OpenCL C
    .language_version:
      - 2
      - 0
    .max_flat_workgroup_size: 256
    .name:           VectorizedTranspose
    .private_segment_fixed_size: 0
    .sgpr_count:     59
    .sgpr_spill_count: 0
    .symbol:         VectorizedTranspose.kd
    .uniform_work_group_size: 1
    .uses_dynamic_stack: false
    .vgpr_count:     26
    .vgpr_spill_count: 0
    .wavefront_size: 64
amdhsa.target:   amdgcn-amd-amdhsa--gfx90a
amdhsa.version:
  - 1
  - 2
...

	.end_amdgpu_metadata
